;; amdgpu-corpus repo=ROCm/rocFFT kind=compiled arch=gfx906 opt=O3
	.text
	.amdgcn_target "amdgcn-amd-amdhsa--gfx906"
	.amdhsa_code_object_version 6
	.protected	bluestein_single_fwd_len756_dim1_dp_op_CI_CI ; -- Begin function bluestein_single_fwd_len756_dim1_dp_op_CI_CI
	.globl	bluestein_single_fwd_len756_dim1_dp_op_CI_CI
	.p2align	8
	.type	bluestein_single_fwd_len756_dim1_dp_op_CI_CI,@function
bluestein_single_fwd_len756_dim1_dp_op_CI_CI: ; @bluestein_single_fwd_len756_dim1_dp_op_CI_CI
; %bb.0:
	s_load_dwordx4 s[16:19], s[4:5], 0x28
	s_mov_b64 s[38:39], s[2:3]
	v_mul_u32_u24_e32 v1, 0x411, v0
	s_mov_b64 s[36:37], s[0:1]
	v_add_u32_sdwa v4, s6, v1 dst_sel:DWORD dst_unused:UNUSED_PAD src0_sel:DWORD src1_sel:WORD_1
	v_mov_b32_e32 v5, 0
	s_add_u32 s36, s36, s7
	s_waitcnt lgkmcnt(0)
	v_cmp_gt_u64_e32 vcc, s[16:17], v[4:5]
	s_addc_u32 s37, s37, 0
	s_and_saveexec_b64 s[0:1], vcc
	s_cbranch_execz .LBB0_10
; %bb.1:
	s_load_dwordx4 s[0:3], s[4:5], 0x18
	s_load_dwordx4 s[12:15], s[4:5], 0x0
	v_mov_b32_e32 v2, 63
	v_mul_lo_u16_sdwa v1, v1, v2 dst_sel:DWORD dst_unused:UNUSED_PAD src0_sel:WORD_1 src1_sel:DWORD
	v_sub_u16_e32 v11, v0, v1
	s_waitcnt lgkmcnt(0)
	s_load_dwordx4 s[8:11], s[0:1], 0x0
	v_mov_b32_e32 v5, v4
	buffer_store_dword v5, off, s[36:39], 0 ; 4-byte Folded Spill
	s_nop 0
	buffer_store_dword v6, off, s[36:39], 0 offset:4 ; 4-byte Folded Spill
	v_lshlrev_b32_e32 v10, 4, v11
	s_movk_i32 s6, 0x1000
	s_waitcnt lgkmcnt(0)
	v_mad_u64_u32 v[0:1], s[0:1], s10, v4, 0
	v_mad_u64_u32 v[2:3], s[0:1], s8, v11, 0
	s_mul_hi_u32 s7, s8, 0xffffec50
	s_sub_i32 s7, s7, s8
	v_mad_u64_u32 v[4:5], s[0:1], s11, v4, v[1:2]
	v_lshlrev_b32_e32 v43, 5, v11
                                        ; implicit-def: $vgpr220_vgpr221
                                        ; implicit-def: $vgpr224_vgpr225
	v_mad_u64_u32 v[5:6], s[0:1], s9, v11, v[3:4]
	v_mov_b32_e32 v1, v4
	v_lshlrev_b64 v[0:1], 4, v[0:1]
	v_mov_b32_e32 v6, s19
	v_mov_b32_e32 v3, v5
	v_add_co_u32_e32 v4, vcc, s18, v0
	v_addc_co_u32_e32 v5, vcc, v6, v1, vcc
	v_lshlrev_b64 v[0:1], 4, v[2:3]
	s_mul_i32 s0, s9, 0x17a0
	v_add_co_u32_e32 v8, vcc, v4, v0
	v_addc_co_u32_e32 v9, vcc, v5, v1, vcc
	v_mov_b32_e32 v0, s13
	v_add_co_u32_e32 v16, vcc, s12, v10
	s_mul_hi_u32 s1, s8, 0x17a0
	v_addc_co_u32_e32 v17, vcc, 0, v0, vcc
	s_add_i32 s0, s1, s0
	s_mul_i32 s1, s8, 0x17a0
	v_mov_b32_e32 v0, s0
	v_add_co_u32_e32 v12, vcc, s1, v8
	v_addc_co_u32_e32 v13, vcc, v9, v0, vcc
	global_load_dwordx4 v[0:3], v[8:9], off
	global_load_dwordx4 v[4:7], v[12:13], off
	v_add_co_u32_e32 v8, vcc, s6, v16
	v_addc_co_u32_e32 v9, vcc, 0, v17, vcc
	global_load_dwordx4 v[34:37], v[8:9], off offset:1952
	global_load_dwordx4 v[108:111], v10, s[12:13]
	global_load_dwordx4 v[96:99], v10, s[12:13] offset:1008
	s_mul_i32 s6, s9, 0xffffec50
	s_add_i32 s6, s7, s6
	s_mul_i32 s7, s8, 0xffffec50
	v_mov_b32_e32 v14, s6
	v_add_co_u32_e32 v12, vcc, s7, v12
	v_addc_co_u32_e32 v13, vcc, v13, v14, vcc
	v_mov_b32_e32 v15, s0
	v_add_co_u32_e32 v14, vcc, s1, v12
	v_addc_co_u32_e32 v15, vcc, v13, v15, vcc
	global_load_dwordx4 v[48:51], v[12:13], off
	global_load_dwordx4 v[52:55], v[14:15], off
	v_mov_b32_e32 v13, s6
	v_add_co_u32_e32 v12, vcc, s7, v14
	v_addc_co_u32_e32 v13, vcc, v15, v13, vcc
	global_load_dwordx4 v[56:59], v[12:13], off
	v_mov_b32_e32 v14, s0
	v_add_co_u32_e32 v12, vcc, s1, v12
	v_addc_co_u32_e32 v13, vcc, v13, v14, vcc
	global_load_dwordx4 v[60:63], v[12:13], off
	global_load_dwordx4 v[44:47], v[8:9], off offset:2960
	global_load_dwordx4 v[20:23], v[8:9], off offset:3968
	v_mov_b32_e32 v14, s6
	v_add_co_u32_e32 v12, vcc, s7, v12
	v_addc_co_u32_e32 v13, vcc, v13, v14, vcc
	global_load_dwordx4 v[64:67], v[12:13], off
	global_load_dwordx4 v[100:103], v10, s[12:13] offset:2016
	global_load_dwordx4 v[88:91], v10, s[12:13] offset:3024
	v_mov_b32_e32 v14, s0
	v_add_co_u32_e32 v12, vcc, s1, v12
	v_addc_co_u32_e32 v13, vcc, v13, v14, vcc
	s_movk_i32 s8, 0x2000
	v_add_co_u32_e32 v14, vcc, s8, v16
	v_addc_co_u32_e32 v15, vcc, 0, v17, vcc
	global_load_dwordx4 v[68:71], v[12:13], off
	v_mov_b32_e32 v16, s6
	v_add_co_u32_e32 v12, vcc, s7, v12
	v_addc_co_u32_e32 v13, vcc, v13, v16, vcc
	global_load_dwordx4 v[72:75], v[12:13], off
	global_load_dwordx4 v[30:33], v10, s[12:13] offset:4032
	v_mov_b32_e32 v16, s0
	v_add_co_u32_e32 v12, vcc, s1, v12
	v_addc_co_u32_e32 v13, vcc, v13, v16, vcc
	global_load_dwordx4 v[104:107], v[14:15], off offset:880
	global_load_dwordx4 v[76:79], v[12:13], off
	global_load_dwordx4 v[26:29], v[14:15], off offset:1888
	v_mov_b32_e32 v16, s6
	v_add_co_u32_e32 v12, vcc, s7, v12
	v_addc_co_u32_e32 v13, vcc, v13, v16, vcc
	global_load_dwordx4 v[80:83], v[12:13], off
	global_load_dwordx4 v[38:41], v[8:9], off offset:944
	v_mov_b32_e32 v9, s0
	v_add_co_u32_e32 v8, vcc, s1, v12
	v_addc_co_u32_e32 v9, vcc, v13, v9, vcc
	global_load_dwordx4 v[84:87], v[8:9], off
	global_load_dwordx4 v[92:95], v[14:15], off offset:2896
	s_movk_i32 s0, 0x7e
	s_movk_i32 s6, 0xab
	s_waitcnt vmcnt(20)
	v_mul_f64 v[8:9], v[2:3], v[110:111]
	v_mul_f64 v[14:15], v[6:7], v[36:37]
	;; [unrolled: 1-line block ×4, first 2 shown]
	v_fma_f64 v[0:1], v[0:1], v[108:109], v[8:9]
	buffer_store_dword v108, off, s[36:39], 0 offset:168 ; 4-byte Folded Spill
	s_nop 0
	buffer_store_dword v109, off, s[36:39], 0 offset:172 ; 4-byte Folded Spill
	buffer_store_dword v110, off, s[36:39], 0 offset:176 ; 4-byte Folded Spill
	;; [unrolled: 1-line block ×3, first 2 shown]
	v_fma_f64 v[4:5], v[4:5], v[34:35], v[14:15]
	buffer_store_dword v34, off, s[36:39], 0 offset:56 ; 4-byte Folded Spill
	s_nop 0
	buffer_store_dword v35, off, s[36:39], 0 offset:60 ; 4-byte Folded Spill
	buffer_store_dword v36, off, s[36:39], 0 offset:64 ; 4-byte Folded Spill
	;; [unrolled: 1-line block ×3, first 2 shown]
	s_load_dwordx4 s[8:11], s[2:3], 0x0
	v_and_b32_e32 v36, 1, v11
	s_waitcnt vmcnt(26)
	v_mul_f64 v[8:9], v[50:51], v[98:99]
	s_mov_b32 s3, 0xbfebb67a
	s_waitcnt vmcnt(22)
	v_mul_f64 v[14:15], v[54:55], v[46:47]
	s_waitcnt vmcnt(19)
	v_mul_f64 v[18:19], v[56:57], v[102:103]
	;; [unrolled: 2-line block ×3, first 2 shown]
	v_fma_f64 v[2:3], v[2:3], v[108:109], -v[12:13]
	v_mul_f64 v[12:13], v[48:49], v[98:99]
	v_fma_f64 v[6:7], v[6:7], v[34:35], -v[16:17]
	ds_write_b128 v10, v[0:3]
	ds_write_b128 v10, v[4:7] offset:6048
	v_fma_f64 v[1:2], v[48:49], v[96:97], v[8:9]
	buffer_store_dword v96, off, s[36:39], 0 offset:120 ; 4-byte Folded Spill
	s_nop 0
	buffer_store_dword v97, off, s[36:39], 0 offset:124 ; 4-byte Folded Spill
	buffer_store_dword v98, off, s[36:39], 0 offset:128 ; 4-byte Folded Spill
	;; [unrolled: 1-line block ×3, first 2 shown]
	v_mul_f64 v[16:17], v[52:53], v[46:47]
	v_fma_f64 v[5:6], v[52:53], v[44:45], v[14:15]
	v_mul_f64 v[14:15], v[62:63], v[22:23]
	v_add_co_u32_e32 v0, vcc, 63, v11
	v_fma_f64 v[7:8], v[54:55], v[44:45], -v[16:17]
	v_mul_f64 v[16:17], v[60:61], v[22:23]
	v_fma_f64 v[3:4], v[50:51], v[96:97], -v[12:13]
	v_mul_f64 v[12:13], v[58:59], v[102:103]
	v_fma_f64 v[48:49], v[56:57], v[100:101], v[12:13]
	buffer_store_dword v100, off, s[36:39], 0 offset:136 ; 4-byte Folded Spill
	s_nop 0
	buffer_store_dword v101, off, s[36:39], 0 offset:140 ; 4-byte Folded Spill
	buffer_store_dword v102, off, s[36:39], 0 offset:144 ; 4-byte Folded Spill
	;; [unrolled: 1-line block ×3, first 2 shown]
	ds_write_b128 v10, v[1:4] offset:1008
	ds_write_b128 v10, v[5:8] offset:7056
	v_fma_f64 v[3:4], v[60:61], v[20:21], v[14:15]
	buffer_store_dword v20, off, s[36:39], 0 offset:40 ; 4-byte Folded Spill
	s_nop 0
	buffer_store_dword v21, off, s[36:39], 0 offset:44 ; 4-byte Folded Spill
	buffer_store_dword v22, off, s[36:39], 0 offset:48 ; 4-byte Folded Spill
	;; [unrolled: 1-line block ×3, first 2 shown]
	v_mul_f64 v[7:8], v[66:67], v[90:91]
	v_mul_f64 v[14:15], v[70:71], v[106:107]
	;; [unrolled: 1-line block ×4, first 2 shown]
	v_add_co_u32_e32 v2, vcc, s0, v11
	s_movk_i32 s0, 0xbd
	v_add_co_u32_e32 v1, vcc, s0, v11
	s_movk_i32 s0, 0x7c
	v_fma_f64 v[50:51], v[58:59], v[100:101], -v[18:19]
	v_mul_f64 v[18:19], v[82:83], v[40:41]
	v_fma_f64 v[5:6], v[62:63], v[20:21], -v[16:17]
	v_mul_f64 v[16:17], v[68:69], v[106:107]
	v_mul_f64 v[20:21], v[80:81], v[40:41]
	ds_write_b128 v10, v[48:51] offset:2016
	v_fma_f64 v[48:49], v[68:69], v[104:105], v[14:15]
	v_mul_f64 v[14:15], v[78:79], v[28:29]
	ds_write_b128 v10, v[3:6] offset:8064
	v_fma_f64 v[3:4], v[64:65], v[88:89], v[7:8]
	buffer_store_dword v88, off, s[36:39], 0 offset:88 ; 4-byte Folded Spill
	s_nop 0
	buffer_store_dword v89, off, s[36:39], 0 offset:92 ; 4-byte Folded Spill
	buffer_store_dword v90, off, s[36:39], 0 offset:96 ; 4-byte Folded Spill
	;; [unrolled: 1-line block ×4, first 2 shown]
	s_nop 0
	buffer_store_dword v105, off, s[36:39], 0 offset:156 ; 4-byte Folded Spill
	buffer_store_dword v106, off, s[36:39], 0 offset:160 ; 4-byte Folded Spill
	;; [unrolled: 1-line block ×3, first 2 shown]
	v_mul_f64 v[7:8], v[74:75], v[32:33]
	v_fma_f64 v[60:61], v[80:81], v[38:39], v[18:19]
	v_fma_f64 v[64:65], v[84:85], v[92:93], v[22:23]
	;; [unrolled: 1-line block ×4, first 2 shown]
	v_fma_f64 v[5:6], v[66:67], v[88:89], -v[12:13]
	v_fma_f64 v[50:51], v[70:71], v[104:105], -v[16:17]
	v_mul_f64 v[12:13], v[72:73], v[32:33]
	v_mul_f64 v[16:17], v[76:77], v[28:29]
	buffer_store_dword v30, off, s[36:39], 0 offset:24 ; 4-byte Folded Spill
	s_nop 0
	buffer_store_dword v31, off, s[36:39], 0 offset:28 ; 4-byte Folded Spill
	buffer_store_dword v32, off, s[36:39], 0 offset:32 ; 4-byte Folded Spill
	buffer_store_dword v33, off, s[36:39], 0 offset:36 ; 4-byte Folded Spill
	buffer_store_dword v26, off, s[36:39], 0 offset:8 ; 4-byte Folded Spill
	s_nop 0
	buffer_store_dword v27, off, s[36:39], 0 offset:12 ; 4-byte Folded Spill
	buffer_store_dword v28, off, s[36:39], 0 offset:16 ; 4-byte Folded Spill
	buffer_store_dword v29, off, s[36:39], 0 offset:20 ; 4-byte Folded Spill
	;; [unrolled: 5-line block ×4, first 2 shown]
	ds_write_b128 v10, v[3:6] offset:3024
	ds_write_b128 v10, v[48:51] offset:9072
	v_lshlrev_b32_e32 v4, 1, v11
	v_add_u32_e32 v3, 0x13b, v11
	v_add_u32_e32 v9, 0x1f8, v4
	v_and_b32_e32 v37, 1, v3
	v_fma_f64 v[54:55], v[74:75], v[30:31], -v[12:13]
	v_fma_f64 v[58:59], v[78:79], v[26:27], -v[16:17]
	;; [unrolled: 1-line block ×4, first 2 shown]
	ds_write_b128 v10, v[52:55] offset:4032
	ds_write_b128 v10, v[56:59] offset:10080
	;; [unrolled: 1-line block ×4, first 2 shown]
	s_waitcnt lgkmcnt(0)
	; wave barrier
	s_waitcnt lgkmcnt(0)
	ds_read_b128 v[5:8], v10
	ds_read_b128 v[48:51], v10 offset:1008
	ds_read_b128 v[52:55], v10 offset:6048
	ds_read_b128 v[56:59], v10 offset:7056
	ds_read_b128 v[60:63], v10 offset:2016
	ds_read_b128 v[64:67], v10 offset:3024
	ds_read_b128 v[68:71], v10 offset:8064
	ds_read_b128 v[72:75], v10 offset:9072
	s_waitcnt lgkmcnt(5)
	v_add_f64 v[52:53], v[5:6], -v[52:53]
	v_add_f64 v[54:55], v[7:8], -v[54:55]
	ds_read_b128 v[76:79], v10 offset:4032
	ds_read_b128 v[80:83], v10 offset:5040
	;; [unrolled: 1-line block ×4, first 2 shown]
	s_waitcnt lgkmcnt(8)
	v_add_f64 v[56:57], v[48:49], -v[56:57]
	v_add_f64 v[58:59], v[50:51], -v[58:59]
	s_waitcnt lgkmcnt(5)
	v_add_f64 v[68:69], v[60:61], -v[68:69]
	v_add_f64 v[70:71], v[62:63], -v[70:71]
	;; [unrolled: 3-line block ×5, first 2 shown]
	v_fma_f64 v[5:6], v[5:6], 2.0, -v[52:53]
	v_fma_f64 v[7:8], v[7:8], 2.0, -v[54:55]
	;; [unrolled: 1-line block ×12, first 2 shown]
	s_waitcnt lgkmcnt(0)
	; wave barrier
	ds_write_b128 v43, v[5:8]
	ds_write_b128 v43, v[52:55] offset:16
	v_lshlrev_b32_e32 v5, 5, v0
	ds_write_b128 v5, v[48:51]
	buffer_store_dword v5, off, s[36:39], 0 offset:224 ; 4-byte Folded Spill
	ds_write_b128 v5, v[56:59] offset:16
	v_lshlrev_b32_e32 v5, 5, v2
	ds_write_b128 v5, v[60:63]
	buffer_store_dword v5, off, s[36:39], 0 offset:228 ; 4-byte Folded Spill
	;; [unrolled: 4-line block ×3, first 2 shown]
	ds_write_b128 v5, v[72:75] offset:16
	v_lshlrev_b32_e32 v5, 4, v4
	v_lshlrev_b32_e32 v6, 4, v9
	ds_write_b128 v5, v[76:79] offset:8064
	v_lshlrev_b32_e32 v5, 5, v3
	v_and_b32_e32 v38, 1, v1
	buffer_store_dword v6, off, s[36:39], 0 offset:236 ; 4-byte Folded Spill
	ds_write_b128 v6, v[84:87] offset:16
	buffer_store_dword v5, off, s[36:39], 0 offset:244 ; 4-byte Folded Spill
	ds_write_b128 v5, v[88:91] offset:16
	v_lshlrev_b32_e32 v5, 4, v36
	v_lshlrev_b32_e32 v6, 4, v38
	ds_write_b128 v43, v[80:83] offset:10080
	s_waitcnt lgkmcnt(0)
	; wave barrier
	s_waitcnt lgkmcnt(0)
	global_load_dwordx4 v[160:163], v5, s[14:15]
	global_load_dwordx4 v[176:179], v6, s[14:15]
	v_lshlrev_b32_e32 v5, 4, v37
	global_load_dwordx4 v[164:167], v5, s[14:15]
	v_and_b32_e32 v39, 1, v0
	v_lshlrev_b32_e32 v6, 4, v39
	global_load_dwordx2 v[231:232], v6, s[14:15]
	global_load_dwordx2 v[229:230], v5, s[14:15] offset:8
	ds_read_b128 v[5:8], v10 offset:6048
	ds_read_b128 v[48:51], v10 offset:7056
	;; [unrolled: 1-line block ×6, first 2 shown]
	v_and_or_b32 v4, v4, s0, v36
	v_lshlrev_b32_e32 v4, 4, v4
	s_movk_i32 s0, 0xfc
	v_lshlrev_b32_e32 v3, 1, v3
	s_waitcnt vmcnt(4) lgkmcnt(5)
	v_mul_f64 v[12:13], v[7:8], v[162:163]
	v_mul_f64 v[14:15], v[5:6], v[162:163]
	s_waitcnt lgkmcnt(3)
	v_mul_f64 v[20:21], v[54:55], v[162:163]
	s_waitcnt vmcnt(2)
	v_mul_f64 v[16:17], v[50:51], v[166:167]
	v_mul_f64 v[18:19], v[48:49], v[166:167]
	;; [unrolled: 1-line block ×3, first 2 shown]
	s_waitcnt lgkmcnt(2)
	v_mul_f64 v[24:25], v[58:59], v[178:179]
	v_mul_f64 v[26:27], v[56:57], v[178:179]
	v_fma_f64 v[12:13], v[5:6], v[160:161], -v[12:13]
	v_fma_f64 v[14:15], v[7:8], v[160:161], v[14:15]
	ds_read_b128 v[5:8], v10 offset:10080
	s_waitcnt vmcnt(1)
	v_fma_f64 v[16:17], v[48:49], v[231:232], -v[16:17]
	v_fma_f64 v[18:19], v[50:51], v[231:232], v[18:19]
	ds_read_b128 v[48:51], v10 offset:11088
	v_fma_f64 v[20:21], v[52:53], v[160:161], -v[20:21]
	v_fma_f64 v[22:23], v[54:55], v[160:161], v[22:23]
	v_fma_f64 v[24:25], v[56:57], v[176:177], -v[24:25]
	ds_read_b128 v[52:55], v10
	v_fma_f64 v[26:27], v[58:59], v[176:177], v[26:27]
	ds_read_b128 v[56:59], v10 offset:1008
	s_waitcnt lgkmcnt(3)
	v_mul_f64 v[28:29], v[7:8], v[162:163]
	v_mul_f64 v[30:31], v[5:6], v[162:163]
	s_waitcnt vmcnt(0) lgkmcnt(2)
	v_mul_f64 v[32:33], v[50:51], v[229:230]
	v_mul_f64 v[34:35], v[48:49], v[229:230]
	s_waitcnt lgkmcnt(1)
	v_add_f64 v[60:61], v[52:53], -v[12:13]
	v_add_f64 v[62:63], v[54:55], -v[14:15]
	s_waitcnt lgkmcnt(0)
	v_add_f64 v[64:65], v[56:57], -v[16:17]
	v_add_f64 v[66:67], v[58:59], -v[18:19]
	v_fma_f64 v[12:13], v[5:6], v[160:161], -v[28:29]
	v_fma_f64 v[14:15], v[7:8], v[160:161], v[30:31]
	v_fma_f64 v[16:17], v[48:49], v[164:165], -v[32:33]
	v_fma_f64 v[18:19], v[50:51], v[164:165], v[34:35]
	v_fma_f64 v[5:6], v[52:53], 2.0, -v[60:61]
	ds_read_b128 v[48:51], v10 offset:2016
	v_fma_f64 v[7:8], v[54:55], 2.0, -v[62:63]
	v_fma_f64 v[52:53], v[56:57], 2.0, -v[64:65]
	v_fma_f64 v[54:55], v[58:59], 2.0, -v[66:67]
	ds_read_b128 v[56:59], v10 offset:3024
	s_waitcnt lgkmcnt(1)
	v_add_f64 v[68:69], v[48:49], -v[20:21]
	v_add_f64 v[70:71], v[50:51], -v[22:23]
	v_add_f64 v[84:85], v[72:73], -v[12:13]
	v_add_f64 v[86:87], v[74:75], -v[14:15]
	s_waitcnt lgkmcnt(0)
	v_add_f64 v[80:81], v[56:57], -v[24:25]
	v_add_f64 v[82:83], v[58:59], -v[26:27]
	;; [unrolled: 1-line block ×4, first 2 shown]
	v_fma_f64 v[48:49], v[48:49], 2.0, -v[68:69]
	v_fma_f64 v[50:51], v[50:51], 2.0, -v[70:71]
	s_waitcnt lgkmcnt(0)
	; wave barrier
	v_fma_f64 v[56:57], v[56:57], 2.0, -v[80:81]
	v_fma_f64 v[58:59], v[58:59], 2.0, -v[82:83]
	ds_write_b128 v4, v[5:8]
	buffer_store_dword v4, off, s[36:39], 0 offset:240 ; 4-byte Folded Spill
	ds_write_b128 v4, v[60:63] offset:32
	v_lshlrev_b32_e32 v4, 1, v0
	v_and_or_b32 v4, v4, s0, v39
	v_lshlrev_b32_e32 v4, 4, v4
	v_fma_f64 v[72:73], v[72:73], 2.0, -v[84:85]
	v_fma_f64 v[74:75], v[74:75], 2.0, -v[86:87]
	;; [unrolled: 1-line block ×4, first 2 shown]
	ds_write_b128 v4, v[52:55]
	buffer_store_dword v4, off, s[36:39], 0 offset:248 ; 4-byte Folded Spill
	ds_write_b128 v4, v[64:67] offset:32
	v_lshlrev_b32_e32 v4, 1, v2
	s_movk_i32 s0, 0x1fc
	v_and_or_b32 v4, v4, s0, v36
	v_lshlrev_b32_e32 v5, 4, v4
	v_lshlrev_b32_e32 v4, 1, v1
	v_and_or_b32 v4, v4, s0, v38
	v_lshlrev_b32_e32 v4, 4, v4
	s_movk_i32 s0, 0x3fc
	ds_write_b128 v5, v[48:51]
	ds_write_b128 v5, v[68:71] offset:32
	ds_write_b128 v4, v[56:59]
	buffer_store_dword v4, off, s[36:39], 0 offset:256 ; 4-byte Folded Spill
	ds_write_b128 v4, v[80:83] offset:32
	v_and_or_b32 v4, v9, s0, v36
	s_movk_i32 s0, 0x2fc
	v_and_or_b32 v3, v3, s0, v37
	v_lshlrev_b32_e32 v4, 4, v4
	v_lshlrev_b32_e32 v3, 4, v3
	v_and_b32_e32 v9, 3, v11
	ds_write_b128 v4, v[72:75]
	ds_write_b128 v4, v[84:87] offset:32
	ds_write_b128 v3, v[76:79]
	buffer_store_dword v3, off, s[36:39], 0 offset:264 ; 4-byte Folded Spill
	ds_write_b128 v3, v[88:91] offset:32
	v_lshlrev_b32_e32 v3, 5, v9
	buffer_store_dword v5, off, s[36:39], 0 offset:252 ; 4-byte Folded Spill
	buffer_store_dword v4, off, s[36:39], 0 offset:260 ; 4-byte Folded Spill
	s_waitcnt lgkmcnt(0)
	; wave barrier
	s_waitcnt lgkmcnt(0)
	global_load_dwordx4 v[184:187], v3, s[14:15] offset:32
	global_load_dwordx4 v[168:171], v3, s[14:15] offset:48
	v_and_b32_e32 v36, 3, v0
	v_lshlrev_b32_e32 v3, 5, v36
	v_and_b32_e32 v37, 3, v2
	global_load_dwordx4 v[180:183], v3, s[14:15] offset:32
	global_load_dwordx4 v[172:175], v3, s[14:15] offset:48
	v_lshlrev_b32_e32 v3, 5, v37
	global_load_dwordx4 v[196:199], v3, s[14:15] offset:32
	global_load_dwordx4 v[188:191], v3, s[14:15] offset:48
	v_and_b32_e32 v38, 3, v1
	v_lshlrev_b32_e32 v3, 5, v38
	global_load_dwordx4 v[192:195], v3, s[14:15] offset:32
	global_load_dwordx4 v[200:203], v3, s[14:15] offset:48
	ds_read_b128 v[3:6], v10 offset:4032
	ds_read_b128 v[48:51], v10 offset:8064
	;; [unrolled: 1-line block ×4, first 2 shown]
	s_mov_b32 s0, 0xe8584caa
	s_mov_b32 s1, 0x3febb67a
	;; [unrolled: 1-line block ×3, first 2 shown]
	s_waitcnt vmcnt(7) lgkmcnt(3)
	v_mul_f64 v[7:8], v[5:6], v[186:187]
	v_mul_f64 v[12:13], v[3:4], v[186:187]
	s_waitcnt vmcnt(6) lgkmcnt(2)
	v_mul_f64 v[14:15], v[50:51], v[170:171]
	v_mul_f64 v[16:17], v[48:49], v[170:171]
	;; [unrolled: 3-line block ×3, first 2 shown]
	v_fma_f64 v[7:8], v[3:4], v[184:185], -v[7:8]
	v_fma_f64 v[12:13], v[5:6], v[184:185], v[12:13]
	ds_read_b128 v[3:6], v10 offset:6048
	v_fma_f64 v[14:15], v[48:49], v[168:169], -v[14:15]
	v_fma_f64 v[16:17], v[50:51], v[168:169], v[16:17]
	ds_read_b128 v[48:51], v10 offset:10080
	ds_read_b128 v[60:63], v10 offset:7056
	s_waitcnt vmcnt(4) lgkmcnt(3)
	v_mul_f64 v[22:23], v[58:59], v[174:175]
	s_waitcnt vmcnt(3) lgkmcnt(2)
	v_mul_f64 v[26:27], v[5:6], v[198:199]
	v_mul_f64 v[28:29], v[3:4], v[198:199]
	;; [unrolled: 1-line block ×3, first 2 shown]
	s_waitcnt vmcnt(2) lgkmcnt(1)
	v_mul_f64 v[30:31], v[50:51], v[190:191]
	v_mul_f64 v[32:33], v[48:49], v[190:191]
	ds_read_b128 v[64:67], v10 offset:11088
	s_waitcnt vmcnt(1) lgkmcnt(1)
	v_mul_f64 v[34:35], v[62:63], v[194:195]
	v_fma_f64 v[18:19], v[52:53], v[180:181], -v[18:19]
	v_fma_f64 v[26:27], v[3:4], v[196:197], -v[26:27]
	v_fma_f64 v[28:29], v[5:6], v[196:197], v[28:29]
	ds_read_b128 v[3:6], v10
	v_fma_f64 v[20:21], v[54:55], v[180:181], v[20:21]
	v_fma_f64 v[22:23], v[56:57], v[172:173], -v[22:23]
	v_fma_f64 v[24:25], v[58:59], v[172:173], v[24:25]
	v_fma_f64 v[30:31], v[48:49], v[188:189], -v[30:31]
	v_fma_f64 v[32:33], v[50:51], v[188:189], v[32:33]
	ds_read_b128 v[48:51], v10 offset:1008
	s_waitcnt vmcnt(0) lgkmcnt(2)
	v_mul_f64 v[54:55], v[66:67], v[202:203]
	v_add_f64 v[58:59], v[7:8], v[14:15]
	s_waitcnt lgkmcnt(1)
	v_add_f64 v[70:71], v[3:4], v[7:8]
	v_fma_f64 v[34:35], v[60:61], v[192:193], -v[34:35]
	v_mul_f64 v[52:53], v[60:61], v[194:195]
	v_add_f64 v[60:61], v[12:13], v[16:17]
	v_add_f64 v[68:69], v[5:6], v[12:13]
	v_mul_f64 v[56:57], v[64:65], v[202:203]
	v_fma_f64 v[80:81], v[64:65], v[200:201], -v[54:55]
	v_fma_f64 v[54:55], v[58:59], -0.5, v[3:4]
	v_add_f64 v[12:13], v[12:13], -v[16:17]
	v_add_f64 v[3:4], v[70:71], v[14:15]
	v_add_f64 v[7:8], v[7:8], -v[14:15]
	v_add_f64 v[14:15], v[18:19], v[22:23]
	v_fma_f64 v[78:79], v[62:63], v[192:193], v[52:53]
	v_fma_f64 v[58:59], v[60:61], -0.5, v[5:6]
	v_add_f64 v[5:6], v[68:69], v[16:17]
	v_add_f64 v[16:17], v[20:21], v[24:25]
	s_waitcnt lgkmcnt(0)
	v_add_f64 v[60:61], v[50:51], v[20:21]
	v_add_f64 v[62:63], v[48:49], v[18:19]
	v_fma_f64 v[82:83], v[66:67], v[200:201], v[56:57]
	v_fma_f64 v[52:53], v[12:13], s[0:1], v[54:55]
	;; [unrolled: 1-line block ×3, first 2 shown]
	v_fma_f64 v[12:13], v[14:15], -0.5, v[48:49]
	v_add_f64 v[14:15], v[20:21], -v[24:25]
	v_fma_f64 v[54:55], v[7:8], s[2:3], v[58:59]
	v_fma_f64 v[58:59], v[7:8], s[0:1], v[58:59]
	v_fma_f64 v[7:8], v[16:17], -0.5, v[50:51]
	v_add_f64 v[50:51], v[60:61], v[24:25]
	v_add_f64 v[48:49], v[62:63], v[22:23]
	ds_read_b128 v[60:63], v10 offset:2016
	ds_read_b128 v[72:75], v10 offset:3024
	v_add_f64 v[16:17], v[18:19], -v[22:23]
	v_fma_f64 v[64:65], v[14:15], s[0:1], v[12:13]
	v_fma_f64 v[68:69], v[14:15], s[2:3], v[12:13]
	v_add_f64 v[12:13], v[28:29], v[32:33]
	s_waitcnt lgkmcnt(1)
	v_add_f64 v[14:15], v[62:63], v[28:29]
	v_add_f64 v[18:19], v[26:27], v[30:31]
	v_add_f64 v[20:21], v[60:61], v[26:27]
	v_add_f64 v[24:25], v[34:35], v[80:81]
	v_fma_f64 v[66:67], v[16:17], s[2:3], v[7:8]
	v_fma_f64 v[70:71], v[16:17], s[0:1], v[7:8]
	s_waitcnt lgkmcnt(0)
	v_fma_f64 v[7:8], v[12:13], -0.5, v[62:63]
	v_add_f64 v[62:63], v[14:15], v[32:33]
	v_add_f64 v[12:13], v[78:79], v[82:83]
	v_add_f64 v[14:15], v[26:27], -v[30:31]
	v_fma_f64 v[18:19], v[18:19], -0.5, v[60:61]
	v_add_f64 v[60:61], v[20:21], v[30:31]
	v_add_f64 v[20:21], v[74:75], v[78:79]
	v_add_f64 v[26:27], v[78:79], -v[82:83]
	v_fma_f64 v[16:17], v[24:25], -0.5, v[72:73]
	v_add_f64 v[24:25], v[72:73], v[34:35]
	v_fma_f64 v[12:13], v[12:13], -0.5, v[74:75]
	v_fma_f64 v[78:79], v[14:15], s[2:3], v[7:8]
	v_fma_f64 v[74:75], v[14:15], s[0:1], v[7:8]
	v_lshrrev_b32_e32 v7, 2, v11
	v_mul_u32_u24_e32 v7, 12, v7
	v_or_b32_e32 v7, v7, v9
	v_lshlrev_b32_e32 v7, 4, v7
	; wave barrier
	ds_write_b128 v7, v[3:6]
	ds_write_b128 v7, v[52:55] offset:64
	v_lshrrev_b32_e32 v3, 2, v0
	v_add_f64 v[22:23], v[28:29], -v[32:33]
	v_add_f64 v[28:29], v[34:35], -v[80:81]
	v_mul_u32_u24_e32 v3, 12, v3
	v_or_b32_e32 v3, v3, v36
	v_lshlrev_b32_e32 v3, 4, v3
	buffer_store_dword v7, off, s[36:39], 0 offset:216 ; 4-byte Folded Spill
	ds_write_b128 v7, v[56:59] offset:128
	ds_write_b128 v3, v[48:51]
	ds_write_b128 v3, v[64:67] offset:64
	buffer_store_dword v3, off, s[36:39], 0 offset:220 ; 4-byte Folded Spill
	ds_write_b128 v3, v[68:71] offset:128
	v_lshrrev_b32_e32 v3, 2, v2
	v_mul_u32_u24_e32 v3, 12, v3
	v_or_b32_e32 v3, v3, v37
	v_lshlrev_b32_e32 v255, 4, v3
	v_lshrrev_b32_e32 v3, 2, v1
	v_add_f64 v[82:83], v[20:21], v[82:83]
	v_add_f64 v[80:81], v[24:25], v[80:81]
	v_mul_u32_u24_e32 v3, 12, v3
	v_fma_f64 v[76:77], v[22:23], s[0:1], v[18:19]
	v_fma_f64 v[84:85], v[26:27], s[0:1], v[16:17]
	;; [unrolled: 1-line block ×3, first 2 shown]
	v_or_b32_e32 v3, v3, v38
	v_fma_f64 v[72:73], v[22:23], s[2:3], v[18:19]
	v_fma_f64 v[88:89], v[26:27], s[2:3], v[16:17]
	;; [unrolled: 1-line block ×3, first 2 shown]
	v_lshlrev_b32_e32 v228, 4, v3
	v_mul_lo_u16_sdwa v3, v11, s6 dst_sel:DWORD dst_unused:UNUSED_PAD src0_sel:BYTE_0 src1_sel:DWORD
	v_lshrrev_b16_e32 v9, 11, v3
	v_mul_lo_u16_e32 v3, 12, v9
	v_sub_u16_e32 v3, v11, v3
	v_and_b32_e32 v36, 0xff, v3
	v_lshlrev_b32_e32 v3, 5, v36
	ds_write_b128 v255, v[60:63]
	ds_write_b128 v255, v[76:79] offset:64
	ds_write_b128 v255, v[72:75] offset:128
	ds_write_b128 v228, v[80:83]
	ds_write_b128 v228, v[84:87] offset:64
	ds_write_b128 v228, v[88:91] offset:128
	s_waitcnt lgkmcnt(0)
	; wave barrier
	s_waitcnt lgkmcnt(0)
	global_load_dwordx4 v[128:131], v3, s[14:15] offset:160
	global_load_dwordx4 v[140:143], v3, s[14:15] offset:176
	v_mul_lo_u16_sdwa v3, v0, s6 dst_sel:DWORD dst_unused:UNUSED_PAD src0_sel:BYTE_0 src1_sel:DWORD
	v_lshrrev_b16_e32 v37, 11, v3
	v_mul_lo_u16_e32 v3, 12, v37
	v_sub_u16_e32 v3, v0, v3
	v_and_b32_e32 v38, 0xff, v3
	v_lshlrev_b32_e32 v3, 5, v38
	global_load_dwordx4 v[132:135], v3, s[14:15] offset:160
	global_load_dwordx4 v[136:139], v3, s[14:15] offset:176
	v_mul_lo_u16_sdwa v3, v2, s6 dst_sel:DWORD dst_unused:UNUSED_PAD src0_sel:BYTE_0 src1_sel:DWORD
	v_lshrrev_b16_e32 v39, 11, v3
	v_mul_lo_u16_e32 v3, 12, v39
	v_sub_u16_e32 v3, v2, v3
	v_and_b32_e32 v40, 0xff, v3
	v_lshlrev_b32_e32 v3, 5, v40
	;; [unrolled: 8-line block ×3, first 2 shown]
	global_load_dwordx4 v[148:151], v3, s[14:15] offset:160
	global_load_dwordx4 v[156:159], v3, s[14:15] offset:176
	ds_read_b128 v[3:6], v10 offset:4032
	ds_read_b128 v[48:51], v10 offset:8064
	;; [unrolled: 1-line block ×4, first 2 shown]
	s_movk_i32 s6, 0xffdc
	s_waitcnt vmcnt(7) lgkmcnt(3)
	v_mul_f64 v[7:8], v[5:6], v[130:131]
	v_mul_f64 v[12:13], v[3:4], v[130:131]
	s_waitcnt vmcnt(6) lgkmcnt(2)
	v_mul_f64 v[14:15], v[50:51], v[142:143]
	v_mul_f64 v[16:17], v[48:49], v[142:143]
	s_waitcnt vmcnt(5) lgkmcnt(1)
	v_mul_f64 v[18:19], v[54:55], v[134:135]
	v_fma_f64 v[7:8], v[3:4], v[128:129], -v[7:8]
	v_fma_f64 v[12:13], v[5:6], v[128:129], v[12:13]
	ds_read_b128 v[3:6], v10 offset:6048
	v_fma_f64 v[14:15], v[48:49], v[140:141], -v[14:15]
	v_fma_f64 v[16:17], v[50:51], v[140:141], v[16:17]
	ds_read_b128 v[48:51], v10 offset:10080
	ds_read_b128 v[60:63], v10 offset:7056
	v_mul_f64 v[20:21], v[52:53], v[134:135]
	s_waitcnt vmcnt(3) lgkmcnt(2)
	v_mul_f64 v[26:27], v[5:6], v[146:147]
	v_mul_f64 v[28:29], v[3:4], v[146:147]
	;; [unrolled: 1-line block ×4, first 2 shown]
	s_waitcnt vmcnt(2) lgkmcnt(1)
	v_mul_f64 v[30:31], v[50:51], v[154:155]
	v_mul_f64 v[32:33], v[48:49], v[154:155]
	s_waitcnt vmcnt(1) lgkmcnt(0)
	v_mul_f64 v[34:35], v[62:63], v[150:151]
	ds_read_b128 v[64:67], v10 offset:11088
	v_fma_f64 v[26:27], v[3:4], v[144:145], -v[26:27]
	v_fma_f64 v[28:29], v[5:6], v[144:145], v[28:29]
	ds_read_b128 v[3:6], v10
	v_fma_f64 v[18:19], v[52:53], v[132:133], -v[18:19]
	v_fma_f64 v[20:21], v[54:55], v[132:133], v[20:21]
	v_fma_f64 v[22:23], v[56:57], v[136:137], -v[22:23]
	v_fma_f64 v[24:25], v[58:59], v[136:137], v[24:25]
	;; [unrolled: 2-line block ×3, first 2 shown]
	ds_read_b128 v[48:51], v10 offset:1008
	v_fma_f64 v[34:35], v[60:61], v[148:149], -v[34:35]
	v_mul_f64 v[52:53], v[60:61], v[150:151]
	v_add_f64 v[54:55], v[7:8], v[14:15]
	s_waitcnt vmcnt(0) lgkmcnt(2)
	v_mul_f64 v[58:59], v[64:65], v[158:159]
	v_add_f64 v[60:61], v[12:13], v[16:17]
	s_waitcnt lgkmcnt(1)
	v_add_f64 v[68:69], v[5:6], v[12:13]
	v_mul_f64 v[56:57], v[66:67], v[158:159]
	v_add_f64 v[12:13], v[12:13], -v[16:17]
	ds_read_b128 v[72:75], v10 offset:3024
	v_fma_f64 v[78:79], v[62:63], v[148:149], v[52:53]
	v_fma_f64 v[54:55], v[54:55], -0.5, v[3:4]
	v_add_f64 v[3:4], v[3:4], v[7:8]
	v_fma_f64 v[82:83], v[66:67], v[156:157], v[58:59]
	v_fma_f64 v[58:59], v[60:61], -0.5, v[5:6]
	v_add_f64 v[5:6], v[68:69], v[16:17]
	v_add_f64 v[16:17], v[18:19], v[22:23]
	v_fma_f64 v[80:81], v[64:65], v[156:157], -v[56:57]
	v_add_f64 v[7:8], v[7:8], -v[14:15]
	v_fma_f64 v[52:53], v[12:13], s[0:1], v[54:55]
	v_add_f64 v[3:4], v[3:4], v[14:15]
	v_add_f64 v[14:15], v[20:21], v[24:25]
	v_fma_f64 v[56:57], v[12:13], s[2:3], v[54:55]
	s_waitcnt lgkmcnt(1)
	v_add_f64 v[60:61], v[50:51], v[20:21]
	v_fma_f64 v[12:13], v[16:17], -0.5, v[48:49]
	v_add_f64 v[16:17], v[20:21], -v[24:25]
	v_add_f64 v[62:63], v[48:49], v[18:19]
	v_fma_f64 v[54:55], v[7:8], s[2:3], v[58:59]
	v_fma_f64 v[58:59], v[7:8], s[0:1], v[58:59]
	v_fma_f64 v[7:8], v[14:15], -0.5, v[50:51]
	v_add_f64 v[14:15], v[18:19], -v[22:23]
	v_add_f64 v[50:51], v[60:61], v[24:25]
	v_add_f64 v[18:19], v[26:27], v[30:31]
	v_fma_f64 v[64:65], v[16:17], s[0:1], v[12:13]
	v_fma_f64 v[68:69], v[16:17], s[2:3], v[12:13]
	v_add_f64 v[12:13], v[28:29], v[32:33]
	v_add_f64 v[48:49], v[62:63], v[22:23]
	ds_read_b128 v[60:63], v10 offset:2016
	v_fma_f64 v[66:67], v[14:15], s[2:3], v[7:8]
	v_add_f64 v[24:25], v[34:35], v[80:81]
	v_fma_f64 v[70:71], v[14:15], s[0:1], v[7:8]
	v_add_f64 v[22:23], v[28:29], -v[32:33]
	s_waitcnt lgkmcnt(0)
	v_add_f64 v[16:17], v[62:63], v[28:29]
	v_add_f64 v[20:21], v[60:61], v[26:27]
	v_fma_f64 v[7:8], v[12:13], -0.5, v[62:63]
	v_add_f64 v[12:13], v[78:79], v[82:83]
	v_fma_f64 v[18:19], v[18:19], -0.5, v[60:61]
	v_add_f64 v[14:15], v[26:27], -v[30:31]
	v_add_f64 v[26:27], v[78:79], -v[82:83]
	;; [unrolled: 1-line block ×3, first 2 shown]
	v_add_f64 v[62:63], v[16:17], v[32:33]
	v_add_f64 v[60:61], v[20:21], v[30:31]
	v_fma_f64 v[16:17], v[24:25], -0.5, v[72:73]
	v_add_f64 v[20:21], v[74:75], v[78:79]
	v_add_f64 v[24:25], v[72:73], v[34:35]
	v_fma_f64 v[12:13], v[12:13], -0.5, v[74:75]
	v_fma_f64 v[72:73], v[22:23], s[2:3], v[18:19]
	v_fma_f64 v[74:75], v[14:15], s[0:1], v[7:8]
	;; [unrolled: 1-line block ×4, first 2 shown]
	v_mul_lo_u16_e32 v7, 36, v9
	v_add_f64 v[82:83], v[20:21], v[82:83]
	v_add_f64 v[80:81], v[24:25], v[80:81]
	v_fma_f64 v[88:89], v[26:27], s[2:3], v[16:17]
	v_fma_f64 v[90:91], v[28:29], s[0:1], v[12:13]
	v_and_b32_e32 v7, 0xfc, v7
	v_fma_f64 v[84:85], v[26:27], s[0:1], v[16:17]
	v_fma_f64 v[86:87], v[28:29], s[2:3], v[12:13]
	v_add_lshl_u32 v7, v7, v36, 4
	s_waitcnt lgkmcnt(0)
	; wave barrier
	ds_write_b128 v7, v[3:6]
	ds_write_b128 v7, v[52:55] offset:192
	v_mul_u32_u24_e32 v3, 36, v37
	v_add_lshl_u32 v3, v3, v38, 4
	buffer_store_dword v7, off, s[36:39], 0 offset:200 ; 4-byte Folded Spill
	ds_write_b128 v7, v[56:59] offset:384
	ds_write_b128 v3, v[48:51]
	ds_write_b128 v3, v[64:67] offset:192
	buffer_store_dword v3, off, s[36:39], 0 offset:204 ; 4-byte Folded Spill
	ds_write_b128 v3, v[68:71] offset:384
	v_mul_u32_u24_e32 v3, 36, v39
	v_add_lshl_u32 v3, v3, v40, 4
	ds_write_b128 v3, v[60:63]
	ds_write_b128 v3, v[76:79] offset:192
	buffer_store_dword v3, off, s[36:39], 0 offset:208 ; 4-byte Folded Spill
	ds_write_b128 v3, v[72:75] offset:384
	v_mul_u32_u24_e32 v3, 36, v41
	v_add_lshl_u32 v3, v3, v42, 4
	ds_write_b128 v3, v[80:83]
	ds_write_b128 v3, v[84:87] offset:192
	buffer_store_dword v3, off, s[36:39], 0 offset:212 ; 4-byte Folded Spill
	ds_write_b128 v3, v[88:91] offset:384
	v_add_co_u32_e32 v3, vcc, s6, v11
	v_addc_co_u32_e64 v4, s[6:7], 0, -1, vcc
	v_cmp_gt_u16_e32 vcc, 36, v11
	v_cndmask_b32_e64 v13, v4, 0, vcc
	v_cndmask_b32_e32 v12, v3, v11, vcc
	v_lshlrev_b64 v[3:4], 5, v[12:13]
	v_mov_b32_e32 v5, s15
	v_add_co_u32_e32 v3, vcc, s14, v3
	v_addc_co_u32_e32 v4, vcc, v5, v4, vcc
	s_waitcnt lgkmcnt(0)
	; wave barrier
	s_waitcnt lgkmcnt(0)
	global_load_dwordx4 v[96:99], v[3:4], off offset:544
	global_load_dwordx4 v[104:107], v[3:4], off offset:560
	v_mov_b32_e32 v3, 57
	v_mul_lo_u16_sdwa v4, v0, v3 dst_sel:DWORD dst_unused:UNUSED_PAD src0_sel:BYTE_0 src1_sel:DWORD
	v_lshrrev_b16_e32 v9, 11, v4
	v_mul_lo_u16_e32 v4, 36, v9
	v_sub_u16_e32 v4, v0, v4
	v_and_b32_e32 v35, 0xff, v4
	v_lshlrev_b32_e32 v4, 5, v35
	global_load_dwordx4 v[100:103], v4, s[14:15] offset:544
	global_load_dwordx4 v[108:111], v4, s[14:15] offset:560
	v_mul_lo_u16_sdwa v4, v2, v3 dst_sel:DWORD dst_unused:UNUSED_PAD src0_sel:BYTE_0 src1_sel:DWORD
	v_lshrrev_b16_e32 v36, 11, v4
	v_mul_lo_u16_e32 v4, 36, v36
	v_sub_u16_e32 v2, v2, v4
	v_and_b32_e32 v37, 0xff, v2
	v_lshlrev_b32_e32 v2, 5, v37
	global_load_dwordx4 v[112:115], v2, s[14:15] offset:544
	global_load_dwordx4 v[120:123], v2, s[14:15] offset:560
	;; [unrolled: 8-line block ×3, first 2 shown]
	ds_read_b128 v[1:4], v10 offset:4032
	ds_read_b128 v[5:8], v10 offset:8064
	;; [unrolled: 1-line block ×4, first 2 shown]
	v_cmp_lt_u16_e32 vcc, 35, v11
	s_waitcnt vmcnt(7) lgkmcnt(3)
	v_mul_f64 v[13:14], v[3:4], v[98:99]
	v_mul_f64 v[15:16], v[1:2], v[98:99]
	s_waitcnt vmcnt(6) lgkmcnt(2)
	v_mul_f64 v[17:18], v[7:8], v[106:107]
	v_mul_f64 v[19:20], v[5:6], v[106:107]
	s_waitcnt vmcnt(5) lgkmcnt(1)
	v_mul_f64 v[21:22], v[50:51], v[102:103]
	v_fma_f64 v[13:14], v[1:2], v[96:97], -v[13:14]
	v_fma_f64 v[15:16], v[3:4], v[96:97], v[15:16]
	ds_read_b128 v[1:4], v10 offset:6048
	v_fma_f64 v[17:18], v[5:6], v[104:105], -v[17:18]
	v_fma_f64 v[19:20], v[7:8], v[104:105], v[19:20]
	ds_read_b128 v[5:8], v10 offset:10080
	ds_read_b128 v[56:59], v10 offset:7056
	v_mul_f64 v[23:24], v[48:49], v[102:103]
	v_fma_f64 v[21:22], v[48:49], v[100:101], -v[21:22]
	s_waitcnt vmcnt(3) lgkmcnt(2)
	v_mul_f64 v[29:30], v[3:4], v[114:115]
	s_waitcnt vmcnt(2) lgkmcnt(1)
	v_mul_f64 v[48:49], v[5:6], v[122:123]
	v_mul_f64 v[31:32], v[1:2], v[114:115]
	;; [unrolled: 1-line block ×5, first 2 shown]
	s_waitcnt vmcnt(1) lgkmcnt(0)
	v_mul_f64 v[64:65], v[58:59], v[118:119]
	v_fma_f64 v[23:24], v[50:51], v[100:101], v[23:24]
	v_add_f64 v[50:51], v[13:14], v[17:18]
	v_fma_f64 v[72:73], v[7:8], v[120:121], v[48:49]
	v_mul_f64 v[48:49], v[56:57], v[118:119]
	ds_read_b128 v[60:63], v10 offset:11088
	v_fma_f64 v[29:30], v[1:2], v[112:113], -v[29:30]
	v_fma_f64 v[31:32], v[3:4], v[112:113], v[31:32]
	ds_read_b128 v[1:4], v10
	v_fma_f64 v[25:26], v[52:53], v[108:109], -v[25:26]
	v_fma_f64 v[27:28], v[54:55], v[108:109], v[27:28]
	v_fma_f64 v[33:34], v[5:6], v[120:121], -v[33:34]
	ds_read_b128 v[5:8], v10 offset:1008
	v_fma_f64 v[74:75], v[56:57], v[116:117], -v[64:65]
	s_waitcnt vmcnt(0) lgkmcnt(2)
	v_mul_f64 v[52:53], v[62:63], v[126:127]
	v_mul_f64 v[54:55], v[60:61], v[126:127]
	v_add_f64 v[56:57], v[15:16], v[19:20]
	s_waitcnt lgkmcnt(1)
	v_add_f64 v[64:65], v[3:4], v[15:16]
	v_fma_f64 v[76:77], v[58:59], v[116:117], v[48:49]
	v_add_f64 v[48:49], v[1:2], v[13:14]
	v_fma_f64 v[50:51], v[50:51], -0.5, v[1:2]
	v_add_f64 v[15:16], v[15:16], -v[19:20]
	v_fma_f64 v[78:79], v[60:61], v[124:125], -v[52:53]
	v_fma_f64 v[80:81], v[62:63], v[124:125], v[54:55]
	v_fma_f64 v[54:55], v[56:57], -0.5, v[3:4]
	v_add_f64 v[3:4], v[64:65], v[19:20]
	v_add_f64 v[19:20], v[21:22], v[25:26]
	;; [unrolled: 1-line block ×3, first 2 shown]
	v_add_f64 v[13:14], v[13:14], -v[17:18]
	v_fma_f64 v[48:49], v[15:16], s[0:1], v[50:51]
	v_add_f64 v[17:18], v[23:24], v[27:28]
	v_fma_f64 v[52:53], v[15:16], s[2:3], v[50:51]
	s_waitcnt lgkmcnt(0)
	v_add_f64 v[15:16], v[7:8], v[23:24]
	v_add_f64 v[56:57], v[5:6], v[21:22]
	v_fma_f64 v[19:20], v[19:20], -0.5, v[5:6]
	v_add_f64 v[23:24], v[23:24], -v[27:28]
	v_fma_f64 v[50:51], v[13:14], s[2:3], v[54:55]
	v_fma_f64 v[54:55], v[13:14], s[0:1], v[54:55]
	v_fma_f64 v[13:14], v[17:18], -0.5, v[7:8]
	v_add_f64 v[17:18], v[21:22], -v[25:26]
	v_add_f64 v[7:8], v[15:16], v[27:28]
	v_add_f64 v[15:16], v[29:30], v[33:34]
	;; [unrolled: 1-line block ×3, first 2 shown]
	ds_read_b128 v[60:63], v10 offset:2016
	ds_read_b128 v[68:71], v10 offset:3024
	v_add_f64 v[5:6], v[56:57], v[25:26]
	v_fma_f64 v[56:57], v[23:24], s[0:1], v[19:20]
	v_fma_f64 v[64:65], v[23:24], s[2:3], v[19:20]
	;; [unrolled: 1-line block ×4, first 2 shown]
	s_waitcnt lgkmcnt(1)
	v_fma_f64 v[13:14], v[15:16], -0.5, v[60:61]
	v_add_f64 v[15:16], v[62:63], v[31:32]
	v_add_f64 v[17:18], v[60:61], v[29:30]
	v_fma_f64 v[19:20], v[21:22], -0.5, v[62:63]
	v_add_f64 v[21:22], v[74:75], v[78:79]
	v_add_f64 v[23:24], v[76:77], v[80:81]
	v_add_f64 v[25:26], v[31:32], -v[72:73]
	v_add_f64 v[31:32], v[74:75], -v[78:79]
	s_waitcnt lgkmcnt(0)
	v_add_f64 v[27:28], v[68:69], v[74:75]
	v_add_f64 v[62:63], v[15:16], v[72:73]
	;; [unrolled: 1-line block ×3, first 2 shown]
	v_add_f64 v[15:16], v[29:30], -v[33:34]
	v_fma_f64 v[17:18], v[21:22], -0.5, v[68:69]
	v_fma_f64 v[21:22], v[23:24], -0.5, v[70:71]
	v_add_f64 v[29:30], v[76:77], -v[80:81]
	v_add_f64 v[23:24], v[70:71], v[76:77]
	v_fma_f64 v[204:205], v[25:26], s[0:1], v[13:14]
	v_fma_f64 v[88:89], v[25:26], s[2:3], v[13:14]
	v_mov_b32_e32 v13, 0x6c
	v_fma_f64 v[206:207], v[15:16], s[2:3], v[19:20]
	v_fma_f64 v[90:91], v[15:16], s[0:1], v[19:20]
	;; [unrolled: 1-line block ×4, first 2 shown]
	v_add_f64 v[94:95], v[23:24], v[80:81]
	v_add_f64 v[92:93], v[27:28], v[78:79]
	v_cndmask_b32_e32 v13, 0, v13, vcc
	v_fma_f64 v[212:213], v[29:30], s[0:1], v[17:18]
	v_fma_f64 v[214:215], v[31:32], s[2:3], v[21:22]
	v_add_lshl_u32 v12, v12, v13, 4
	s_waitcnt lgkmcnt(0)
	; wave barrier
	ds_write_b128 v12, v[1:4]
	ds_write_b128 v12, v[48:51] offset:576
	v_mul_u32_u24_e32 v1, 0x6c, v9
	v_add_lshl_u32 v1, v1, v35, 4
	buffer_store_dword v12, off, s[36:39], 0 offset:184 ; 4-byte Folded Spill
	ds_write_b128 v12, v[52:55] offset:1152
	ds_write_b128 v1, v[5:8]
	ds_write_b128 v1, v[56:59] offset:576
	buffer_store_dword v1, off, s[36:39], 0 offset:188 ; 4-byte Folded Spill
	ds_write_b128 v1, v[64:67] offset:1152
	v_mul_u32_u24_e32 v1, 0x6c, v36
	v_add_lshl_u32 v2, v1, v37, 4
	v_mul_u32_u24_e32 v1, 0x6c, v38
	v_add_lshl_u32 v1, v1, v39, 4
	ds_write_b128 v2, v[60:63]
	ds_write_b128 v2, v[204:207] offset:576
	buffer_store_dword v2, off, s[36:39], 0 offset:192 ; 4-byte Folded Spill
	ds_write_b128 v2, v[88:91] offset:1152
	ds_write_b128 v1, v[92:95]
	ds_write_b128 v1, v[212:215] offset:576
	buffer_store_dword v1, off, s[36:39], 0 offset:196 ; 4-byte Folded Spill
	ds_write_b128 v1, v[216:219] offset:1152
	s_waitcnt lgkmcnt(0)
	; wave barrier
	s_waitcnt lgkmcnt(0)
	ds_read_b128 v[208:211], v10
	ds_read_b128 v[84:87], v10 offset:1728
	ds_read_b128 v[80:83], v10 offset:3456
	;; [unrolled: 1-line block ×6, first 2 shown]
	s_load_dwordx2 s[2:3], s[4:5], 0x38
	v_cmp_gt_u16_e64 s[0:1], 45, v11
	s_and_saveexec_b64 s[4:5], s[0:1]
	s_cbranch_execz .LBB0_3
; %bb.2:
	ds_read_b128 v[204:207], v10 offset:1008
	ds_read_b128 v[88:91], v10 offset:2736
	ds_read_b128 v[92:95], v10 offset:4464
	ds_read_b128 v[212:215], v10 offset:6192
	ds_read_b128 v[216:219], v10 offset:7920
	ds_read_b128 v[220:223], v10 offset:9648
	ds_read_b128 v[224:227], v10 offset:11376
.LBB0_3:
	s_or_b64 exec, exec, s[4:5]
	v_mov_b32_e32 v1, s14
	s_movk_i32 s4, 0x60
	v_mov_b32_e32 v2, s15
	v_mad_u64_u32 v[1:2], s[4:5], v11, s4, v[1:2]
	v_subrev_u32_e32 v9, 45, v11
	global_load_dwordx4 v[56:59], v[1:2], off offset:1744
	global_load_dwordx4 v[64:67], v[1:2], off offset:1728
	;; [unrolled: 1-line block ×4, first 2 shown]
	v_cndmask_b32_e64 v0, v9, v0, s[0:1]
	v_mul_hi_i32_i24_e32 v9, 0x60, v0
	v_mul_i32_i24_e32 v0, 0x60, v0
	v_add_co_u32_e32 v28, vcc, s14, v0
	v_mov_b32_e32 v0, s15
	v_addc_co_u32_e32 v29, vcc, v0, v9, vcc
	s_mov_b32 s14, 0x37e14327
	s_mov_b32 s4, 0x36b3c0b5
	s_mov_b32 s16, 0xe976ee23
	s_mov_b32 s18, 0x429ad128
	s_mov_b32 s15, 0x3fe948f6
	s_mov_b32 s5, 0x3fac98ee
	s_mov_b32 s17, 0xbfe11646
	s_mov_b32 s19, 0x3febfeb5
	s_mov_b32 s20, 0xaaaaaaaa
	s_mov_b32 s6, 0x5476071b
	s_mov_b32 s28, 0xb247c609
	s_mov_b32 s21, 0xbff2aaaa
	s_mov_b32 s7, 0x3fe77f67
	s_mov_b32 s23, 0xbfe77f67
	s_mov_b32 s22, s6
	s_mov_b32 s29, 0x3fd5d0dc
	s_mov_b32 s27, 0xbfd5d0dc
	s_mov_b32 s26, s28
	s_mov_b32 s24, 0x37c3f68c
	s_mov_b32 s25, 0x3fdc38aa
	s_waitcnt vmcnt(3) lgkmcnt(0)
	v_mul_f64 v[18:19], v[62:63], v[58:59]
	s_waitcnt vmcnt(2)
	v_mul_f64 v[14:15], v[78:79], v[66:67]
	v_mul_f64 v[16:17], v[76:77], v[66:67]
	s_waitcnt vmcnt(0)
	v_mul_f64 v[3:4], v[86:87], v[74:75]
	v_mul_f64 v[5:6], v[84:85], v[74:75]
	;; [unrolled: 1-line block ×5, first 2 shown]
	v_fma_f64 v[18:19], v[60:61], v[56:57], -v[18:19]
	v_fma_f64 v[14:15], v[76:77], v[64:65], -v[14:15]
	v_fma_f64 v[16:17], v[78:79], v[64:65], v[16:17]
	v_fma_f64 v[3:4], v[84:85], v[72:73], -v[3:4]
	v_fma_f64 v[5:6], v[86:87], v[72:73], v[5:6]
	global_load_dwordx4 v[84:87], v[1:2], off offset:1776
	global_load_dwordx4 v[76:79], v[1:2], off offset:1760
	v_fma_f64 v[7:8], v[80:81], v[68:69], -v[7:8]
	v_fma_f64 v[12:13], v[82:83], v[68:69], v[12:13]
	v_fma_f64 v[20:21], v[62:63], v[56:57], v[20:21]
	s_waitcnt vmcnt(1)
	v_mul_f64 v[24:25], v[50:51], v[86:87]
	s_waitcnt vmcnt(0)
	v_mul_f64 v[1:2], v[54:55], v[78:79]
	v_mul_f64 v[22:23], v[52:53], v[78:79]
	;; [unrolled: 1-line block ×3, first 2 shown]
	v_fma_f64 v[24:25], v[48:49], v[84:85], -v[24:25]
	v_fma_f64 v[1:2], v[52:53], v[76:77], -v[1:2]
	v_fma_f64 v[22:23], v[54:55], v[76:77], v[22:23]
	v_fma_f64 v[26:27], v[50:51], v[84:85], v[26:27]
	global_load_dwordx4 v[48:51], v[28:29], off offset:1744
	global_load_dwordx4 v[52:55], v[28:29], off offset:1728
	;; [unrolled: 1-line block ×4, first 2 shown]
	v_add_f64 v[32:33], v[7:8], v[1:2]
	v_add_f64 v[34:35], v[12:13], v[22:23]
	v_add_f64 v[0:1], v[7:8], -v[1:2]
	v_add_f64 v[8:9], v[16:17], v[20:21]
	s_waitcnt vmcnt(0)
	v_mul_f64 v[30:31], v[90:91], v[82:83]
	v_fma_f64 v[233:234], v[88:89], v[80:81], -v[30:31]
	v_mul_f64 v[30:31], v[88:89], v[82:83]
	v_fma_f64 v[239:240], v[90:91], v[80:81], v[30:31]
	v_mul_f64 v[30:31], v[94:95], v[62:63]
	v_fma_f64 v[235:236], v[92:93], v[60:61], -v[30:31]
	v_mul_f64 v[30:31], v[92:93], v[62:63]
	v_fma_f64 v[241:242], v[94:95], v[60:61], v[30:31]
	global_load_dwordx4 v[88:91], v[28:29], off offset:1776
	global_load_dwordx4 v[92:95], v[28:29], off offset:1760
	v_mul_f64 v[30:31], v[214:215], v[54:55]
	v_fma_f64 v[237:238], v[212:213], v[52:53], -v[30:31]
	v_mul_f64 v[30:31], v[212:213], v[54:55]
	v_fma_f64 v[243:244], v[214:215], v[52:53], v[30:31]
	v_mul_f64 v[30:31], v[218:219], v[50:51]
	v_fma_f64 v[245:246], v[216:217], v[48:49], -v[30:31]
	v_mul_f64 v[30:31], v[216:217], v[50:51]
	v_fma_f64 v[216:217], v[218:219], v[48:49], v[30:31]
	v_add_f64 v[30:31], v[5:6], v[26:27]
	v_add_f64 v[26:27], v[5:6], -v[26:27]
	v_add_f64 v[6:7], v[14:15], v[18:19]
	v_add_f64 v[253:254], v[34:35], -v[30:31]
	s_waitcnt vmcnt(0)
	v_mul_f64 v[28:29], v[222:223], v[94:95]
	v_fma_f64 v[218:219], v[220:221], v[92:93], -v[28:29]
	v_mul_f64 v[28:29], v[220:221], v[94:95]
	v_fma_f64 v[220:221], v[222:223], v[92:93], v[28:29]
	v_mul_f64 v[28:29], v[226:227], v[90:91]
	v_fma_f64 v[222:223], v[224:225], v[88:89], -v[28:29]
	v_mul_f64 v[28:29], v[224:225], v[90:91]
	v_fma_f64 v[224:225], v[226:227], v[88:89], v[28:29]
	v_add_f64 v[28:29], v[3:4], v[24:25]
	v_add_f64 v[24:25], v[3:4], -v[24:25]
	v_add_f64 v[2:3], v[12:13], -v[22:23]
	;; [unrolled: 1-line block ×4, first 2 shown]
	v_add_f64 v[18:19], v[34:35], v[30:31]
	v_add_f64 v[22:23], v[30:31], -v[8:9]
	v_add_f64 v[30:31], v[8:9], -v[34:35]
	v_add_f64 v[16:17], v[32:33], v[28:29]
	v_add_f64 v[4:5], v[32:33], -v[28:29]
	v_add_f64 v[20:21], v[28:29], -v[6:7]
	;; [unrolled: 1-line block ×3, first 2 shown]
	v_add_f64 v[32:33], v[12:13], v[0:1]
	v_add_f64 v[34:35], v[14:15], v[2:3]
	v_add_f64 v[36:37], v[12:13], -v[0:1]
	v_add_f64 v[38:39], v[14:15], -v[2:3]
	;; [unrolled: 1-line block ×4, first 2 shown]
	v_add_f64 v[6:7], v[6:7], v[16:17]
	v_add_f64 v[8:9], v[8:9], v[18:19]
	v_add_f64 v[249:250], v[24:25], -v[12:13]
	v_add_f64 v[251:252], v[26:27], -v[14:15]
	v_add_f64 v[247:248], v[32:33], v[24:25]
	v_add_f64 v[226:227], v[34:35], v[26:27]
	v_mul_f64 v[12:13], v[20:21], s[14:15]
	v_mul_f64 v[14:15], v[22:23], s[14:15]
	v_add_f64 v[212:213], v[208:209], v[6:7]
	v_add_f64 v[214:215], v[210:211], v[8:9]
	v_mul_f64 v[16:17], v[28:29], s[4:5]
	v_mul_f64 v[20:21], v[36:37], s[16:17]
	;; [unrolled: 1-line block ×6, first 2 shown]
	v_fma_f64 v[6:7], v[6:7], s[20:21], v[212:213]
	v_fma_f64 v[8:9], v[8:9], s[20:21], v[214:215]
	;; [unrolled: 1-line block ×4, first 2 shown]
	v_fma_f64 v[16:17], v[4:5], s[6:7], -v[16:17]
	v_fma_f64 v[4:5], v[4:5], s[22:23], -v[12:13]
	;; [unrolled: 1-line block ×3, first 2 shown]
	v_fma_f64 v[14:15], v[249:250], s[28:29], v[20:21]
	v_fma_f64 v[32:33], v[251:252], s[28:29], v[22:23]
	v_fma_f64 v[0:1], v[0:1], s[18:19], -v[20:21]
	v_fma_f64 v[2:3], v[2:3], s[18:19], -v[22:23]
	;; [unrolled: 1-line block ×5, first 2 shown]
	v_add_f64 v[34:35], v[28:29], v[6:7]
	v_add_f64 v[36:37], v[30:31], v[8:9]
	;; [unrolled: 1-line block ×5, first 2 shown]
	v_fma_f64 v[30:31], v[247:248], s[24:25], v[20:21]
	v_fma_f64 v[28:29], v[226:227], s[24:25], v[22:23]
	v_add_f64 v[26:27], v[18:19], v[8:9]
	v_fma_f64 v[8:9], v[247:248], s[24:25], v[14:15]
	v_fma_f64 v[32:33], v[226:227], s[24:25], v[32:33]
	v_add_f64 v[38:39], v[235:236], v[218:219]
	v_add_f64 v[208:209], v[241:242], v[220:221]
	v_fma_f64 v[0:1], v[247:248], s[24:25], v[0:1]
	v_add_f64 v[18:19], v[6:7], -v[30:31]
	v_add_f64 v[16:17], v[28:29], v[4:5]
	v_add_f64 v[28:29], v[4:5], -v[28:29]
	v_add_f64 v[30:31], v[30:31], v[6:7]
	v_add_f64 v[4:5], v[233:234], v[222:223]
	;; [unrolled: 1-line block ×3, first 2 shown]
	v_fma_f64 v[2:3], v[226:227], s[24:25], v[2:3]
	v_add_f64 v[12:13], v[32:33], v[34:35]
	v_add_f64 v[14:15], v[36:37], -v[8:9]
	v_add_f64 v[32:33], v[34:35], -v[32:33]
	v_add_f64 v[34:35], v[8:9], v[36:37]
	v_add_f64 v[8:9], v[233:234], -v[222:223]
	v_add_f64 v[36:37], v[239:240], -v[224:225]
	v_add_f64 v[210:211], v[235:236], -v[218:219]
	v_add_f64 v[218:219], v[241:242], -v[220:221]
	v_add_f64 v[220:221], v[237:238], v[245:246]
	v_add_f64 v[222:223], v[243:244], v[216:217]
	v_add_f64 v[224:225], v[245:246], -v[237:238]
	v_add_f64 v[216:217], v[216:217], -v[243:244]
	v_add_f64 v[226:227], v[38:39], v[4:5]
	v_add_f64 v[233:234], v[208:209], v[6:7]
	v_add_f64 v[20:21], v[24:25], -v[2:3]
	v_add_f64 v[22:23], v[0:1], v[26:27]
	v_add_f64 v[24:25], v[2:3], v[24:25]
	v_add_f64 v[26:27], v[26:27], -v[0:1]
	v_add_f64 v[0:1], v[38:39], -v[4:5]
	;; [unrolled: 1-line block ×7, first 2 shown]
	v_add_f64 v[38:39], v[224:225], v[210:211]
	v_add_f64 v[208:209], v[216:217], v[218:219]
	v_add_f64 v[239:240], v[224:225], -v[210:211]
	v_add_f64 v[241:242], v[216:217], -v[218:219]
	;; [unrolled: 1-line block ×5, first 2 shown]
	v_add_f64 v[247:248], v[220:221], v[226:227]
	v_add_f64 v[249:250], v[222:223], v[233:234]
	v_add_f64 v[245:246], v[36:37], -v[216:217]
	v_add_f64 v[226:227], v[38:39], v[8:9]
	v_add_f64 v[233:234], v[208:209], v[36:37]
	v_mul_f64 v[8:9], v[235:236], s[14:15]
	v_mul_f64 v[36:37], v[237:238], s[14:15]
	;; [unrolled: 1-line block ×3, first 2 shown]
	v_add_f64 v[216:217], v[204:205], v[247:248]
	v_add_f64 v[218:219], v[206:207], v[249:250]
	v_mul_f64 v[220:221], v[241:242], s[16:17]
	v_mul_f64 v[239:240], v[210:211], s[18:19]
	;; [unrolled: 1-line block ×3, first 2 shown]
	v_fma_f64 v[38:39], v[4:5], s[4:5], v[8:9]
	v_fma_f64 v[204:205], v[6:7], s[4:5], v[36:37]
	v_fma_f64 v[8:9], v[0:1], s[22:23], -v[8:9]
	v_fma_f64 v[222:223], v[247:248], s[20:21], v[216:217]
	v_fma_f64 v[237:238], v[249:250], s[20:21], v[218:219]
	v_fma_f64 v[36:37], v[2:3], s[22:23], -v[36:37]
	v_fma_f64 v[206:207], v[243:244], s[28:29], v[235:236]
	v_fma_f64 v[208:209], v[245:246], s[28:29], v[220:221]
	v_fma_f64 v[210:211], v[243:244], s[26:27], -v[239:240]
	v_fma_f64 v[40:41], v[245:246], s[26:27], -v[224:225]
	ds_write_b128 v10, v[212:215]
	ds_write_b128 v10, v[12:15] offset:1728
	ds_write_b128 v10, v[16:19] offset:3456
	;; [unrolled: 1-line block ×6, first 2 shown]
	v_add_f64 v[241:242], v[38:39], v[222:223]
	v_add_f64 v[243:244], v[204:205], v[237:238]
	;; [unrolled: 1-line block ×4, first 2 shown]
	v_fma_f64 v[247:248], v[226:227], s[24:25], v[206:207]
	v_fma_f64 v[245:246], v[233:234], s[24:25], v[208:209]
	;; [unrolled: 1-line block ×4, first 2 shown]
	v_add_f64 v[210:211], v[247:248], v[243:244]
	v_add_f64 v[208:209], v[241:242], -v[245:246]
	v_add_f64 v[206:207], v[253:254], v[251:252]
	v_add_f64 v[204:205], v[249:250], -v[8:9]
	s_and_saveexec_b64 s[14:15], s[0:1]
	s_cbranch_execz .LBB0_5
; %bb.4:
	v_mul_f64 v[6:7], v[6:7], s[4:5]
	v_mul_f64 v[2:3], v[2:3], s[6:7]
	;; [unrolled: 1-line block ×6, first 2 shown]
	v_add_f64 v[16:17], v[239:240], -v[235:236]
	v_add_f64 v[2:3], v[2:3], -v[6:7]
	;; [unrolled: 1-line block ×4, first 2 shown]
	v_add_f64 v[4:5], v[245:246], v[241:242]
	v_add_f64 v[12:13], v[12:13], v[16:17]
	;; [unrolled: 1-line block ×5, first 2 shown]
	v_add_f64 v[6:7], v[243:244], -v[247:248]
	v_add_f64 v[2:3], v[251:252], -v[253:254]
	v_add_f64 v[0:1], v[8:9], v[249:250]
	v_add_f64 v[14:15], v[16:17], -v[12:13]
	v_add_f64 v[18:19], v[12:13], v[16:17]
	;; [unrolled: 2-line block ×3, first 2 shown]
	ds_write_b128 v10, v[216:219] offset:1008
	ds_write_b128 v10, v[204:207] offset:9648
	;; [unrolled: 1-line block ×7, first 2 shown]
.LBB0_5:
	s_or_b64 exec, exec, s[14:15]
	v_lshlrev_b32_e32 v0, 4, v11
	v_add_co_u32_e32 v18, vcc, s12, v0
	v_mov_b32_e32 v0, s13
	v_addc_co_u32_e32 v19, vcc, 0, v0, vcc
	s_movk_i32 s4, 0x2f40
	v_add_co_u32_e32 v8, vcc, s4, v18
	v_addc_co_u32_e32 v9, vcc, 0, v19, vcc
	s_movk_i32 s4, 0x2000
	v_add_co_u32_e32 v4, vcc, s4, v18
	v_addc_co_u32_e32 v5, vcc, 0, v19, vcc
	s_waitcnt lgkmcnt(0)
	; wave barrier
	s_waitcnt lgkmcnt(0)
	global_load_dwordx4 v[4:7], v[4:5], off offset:3904
	ds_read_b128 v[0:3], v10
	s_movk_i32 s4, 0x4000
	v_add_co_u32_e32 v16, vcc, s4, v18
	v_addc_co_u32_e32 v17, vcc, 0, v19, vcc
	s_movk_i32 s4, 0x5000
	v_add_co_u32_e32 v18, vcc, s4, v18
	v_addc_co_u32_e32 v19, vcc, 0, v19, vcc
	s_mov_b32 s4, 0xe8584caa
	s_mov_b32 s5, 0xbfebb67a
	s_mov_b32 s7, 0x3febb67a
	s_mov_b32 s6, s4
	s_waitcnt vmcnt(0) lgkmcnt(0)
	v_mul_f64 v[12:13], v[2:3], v[6:7]
	v_fma_f64 v[12:13], v[0:1], v[4:5], -v[12:13]
	v_mul_f64 v[0:1], v[0:1], v[6:7]
	v_fma_f64 v[14:15], v[2:3], v[4:5], v[0:1]
	global_load_dwordx4 v[4:7], v[16:17], off offset:1760
	ds_read_b128 v[0:3], v10 offset:6048
	ds_write_b128 v10, v[12:15]
	s_waitcnt vmcnt(0) lgkmcnt(1)
	v_mul_f64 v[12:13], v[2:3], v[6:7]
	v_fma_f64 v[12:13], v[0:1], v[4:5], -v[12:13]
	v_mul_f64 v[0:1], v[0:1], v[6:7]
	v_fma_f64 v[14:15], v[2:3], v[4:5], v[0:1]
	global_load_dwordx4 v[4:7], v[8:9], off offset:1008
	ds_read_b128 v[0:3], v10 offset:1008
	ds_write_b128 v10, v[12:15] offset:6048
	s_waitcnt vmcnt(0) lgkmcnt(1)
	v_mul_f64 v[12:13], v[2:3], v[6:7]
	v_fma_f64 v[12:13], v[0:1], v[4:5], -v[12:13]
	v_mul_f64 v[0:1], v[0:1], v[6:7]
	v_fma_f64 v[14:15], v[2:3], v[4:5], v[0:1]
	global_load_dwordx4 v[4:7], v[16:17], off offset:2768
	ds_read_b128 v[0:3], v10 offset:7056
	ds_write_b128 v10, v[12:15] offset:1008
	;; [unrolled: 8-line block ×10, first 2 shown]
	s_waitcnt vmcnt(0) lgkmcnt(1)
	v_mul_f64 v[8:9], v[2:3], v[6:7]
	v_fma_f64 v[12:13], v[0:1], v[4:5], -v[8:9]
	v_mul_f64 v[0:1], v[0:1], v[6:7]
	v_fma_f64 v[14:15], v[2:3], v[4:5], v[0:1]
	ds_write_b128 v10, v[12:15] offset:11088
	s_waitcnt lgkmcnt(0)
	; wave barrier
	s_waitcnt lgkmcnt(0)
	ds_read_b128 v[0:3], v10
	ds_read_b128 v[4:7], v10 offset:6048
	ds_read_b128 v[12:15], v10 offset:1008
	;; [unrolled: 1-line block ×11, first 2 shown]
	s_waitcnt lgkmcnt(10)
	v_add_f64 v[4:5], v[0:1], -v[4:5]
	v_add_f64 v[6:7], v[2:3], -v[6:7]
	s_waitcnt lgkmcnt(0)
	; wave barrier
	s_waitcnt lgkmcnt(0)
	v_add_f64 v[16:17], v[12:13], -v[16:17]
	v_add_f64 v[18:19], v[14:15], -v[18:19]
	;; [unrolled: 1-line block ×4, first 2 shown]
	v_fma_f64 v[0:1], v[0:1], 2.0, -v[4:5]
	v_fma_f64 v[2:3], v[2:3], 2.0, -v[6:7]
	ds_write_b128 v43, v[0:3]
	ds_write_b128 v43, v[4:7] offset:16
	buffer_load_dword v0, off, s[36:39], 0 offset:224 ; 4-byte Folded Reload
	v_fma_f64 v[12:13], v[12:13], 2.0, -v[16:17]
	v_fma_f64 v[14:15], v[14:15], 2.0, -v[18:19]
	;; [unrolled: 1-line block ×4, first 2 shown]
	v_add_f64 v[32:33], v[28:29], -v[32:33]
	v_add_f64 v[34:35], v[30:31], -v[34:35]
	;; [unrolled: 1-line block ×6, first 2 shown]
	s_waitcnt vmcnt(0)
	ds_write_b128 v0, v[12:15]
	ds_write_b128 v0, v[16:19] offset:16
	buffer_load_dword v0, off, s[36:39], 0 offset:228 ; 4-byte Folded Reload
	v_fma_f64 v[28:29], v[28:29], 2.0, -v[32:33]
	v_fma_f64 v[30:31], v[30:31], 2.0, -v[34:35]
	;; [unrolled: 1-line block ×6, first 2 shown]
	s_waitcnt vmcnt(0)
	ds_write_b128 v0, v[20:23]
	ds_write_b128 v0, v[24:27] offset:16
	buffer_load_dword v0, off, s[36:39], 0 offset:232 ; 4-byte Folded Reload
	s_waitcnt vmcnt(0)
	ds_write_b128 v0, v[28:31]
	ds_write_b128 v0, v[32:35] offset:16
	buffer_load_dword v0, off, s[36:39], 0 offset:236 ; 4-byte Folded Reload
	;; [unrolled: 4-line block ×3, first 2 shown]
	s_waitcnt vmcnt(0)
	ds_write_b128 v0, v[220:223]
	ds_write_b128 v0, v[224:227] offset:16
	s_waitcnt lgkmcnt(0)
	; wave barrier
	s_waitcnt lgkmcnt(0)
	ds_read_b128 v[0:3], v10
	ds_read_b128 v[4:7], v10 offset:6048
	ds_read_b128 v[12:15], v10 offset:1008
	;; [unrolled: 1-line block ×11, first 2 shown]
	s_waitcnt lgkmcnt(10)
	v_mul_f64 v[8:9], v[162:163], v[6:7]
	s_waitcnt lgkmcnt(0)
	; wave barrier
	s_waitcnt lgkmcnt(0)
	v_fma_f64 v[8:9], v[160:161], v[4:5], v[8:9]
	v_mul_f64 v[4:5], v[162:163], v[4:5]
	v_fma_f64 v[6:7], v[160:161], v[6:7], -v[4:5]
	v_mul_f64 v[4:5], v[166:167], v[18:19]
	v_add_f64 v[6:7], v[2:3], -v[6:7]
	v_fma_f64 v[36:37], v[231:232], v[16:17], v[4:5]
	v_mul_f64 v[4:5], v[166:167], v[16:17]
	v_fma_f64 v[2:3], v[2:3], 2.0, -v[6:7]
	v_add_f64 v[16:17], v[12:13], -v[36:37]
	v_fma_f64 v[18:19], v[231:232], v[18:19], -v[4:5]
	v_mul_f64 v[4:5], v[162:163], v[26:27]
	v_fma_f64 v[12:13], v[12:13], 2.0, -v[16:17]
	v_add_f64 v[18:19], v[14:15], -v[18:19]
	v_fma_f64 v[38:39], v[160:161], v[24:25], v[4:5]
	v_mul_f64 v[4:5], v[162:163], v[24:25]
	v_fma_f64 v[14:15], v[14:15], 2.0, -v[18:19]
	v_add_f64 v[24:25], v[20:21], -v[38:39]
	v_fma_f64 v[26:27], v[160:161], v[26:27], -v[4:5]
	v_mul_f64 v[4:5], v[178:179], v[34:35]
	v_fma_f64 v[20:21], v[20:21], 2.0, -v[24:25]
	;; [unrolled: 8-line block ×3, first 2 shown]
	v_add_f64 v[34:35], v[30:31], -v[34:35]
	v_fma_f64 v[42:43], v[160:161], v[216:217], v[4:5]
	v_mul_f64 v[4:5], v[162:163], v[216:217]
	v_fma_f64 v[30:31], v[30:31], 2.0, -v[34:35]
	v_fma_f64 v[162:163], v[160:161], v[218:219], -v[4:5]
	v_mul_f64 v[4:5], v[229:230], v[226:227]
	v_add_f64 v[160:161], v[212:213], -v[42:43]
	v_add_f64 v[162:163], v[214:215], -v[162:163]
	v_fma_f64 v[176:177], v[164:165], v[224:225], v[4:5]
	v_mul_f64 v[4:5], v[229:230], v[224:225]
	v_fma_f64 v[166:167], v[214:215], 2.0, -v[162:163]
	v_add_f64 v[176:177], v[220:221], -v[176:177]
	v_fma_f64 v[178:179], v[164:165], v[226:227], -v[4:5]
	v_add_f64 v[4:5], v[0:1], -v[8:9]
	buffer_load_dword v8, off, s[36:39], 0 offset:240 ; 4-byte Folded Reload
	v_fma_f64 v[164:165], v[212:213], 2.0, -v[160:161]
	v_fma_f64 v[212:213], v[220:221], 2.0, -v[176:177]
	v_add_f64 v[178:179], v[222:223], -v[178:179]
	v_fma_f64 v[0:1], v[0:1], 2.0, -v[4:5]
	s_waitcnt vmcnt(0)
	ds_write_b128 v8, v[0:3]
	ds_write_b128 v8, v[4:7] offset:32
	buffer_load_dword v0, off, s[36:39], 0 offset:248 ; 4-byte Folded Reload
	v_fma_f64 v[214:215], v[222:223], 2.0, -v[178:179]
	s_waitcnt vmcnt(0)
	ds_write_b128 v0, v[12:15]
	ds_write_b128 v0, v[16:19] offset:32
	buffer_load_dword v0, off, s[36:39], 0 offset:252 ; 4-byte Folded Reload
	s_waitcnt vmcnt(0)
	ds_write_b128 v0, v[20:23]
	ds_write_b128 v0, v[24:27] offset:32
	buffer_load_dword v0, off, s[36:39], 0 offset:256 ; 4-byte Folded Reload
	;; [unrolled: 4-line block ×4, first 2 shown]
	s_waitcnt vmcnt(0)
	ds_write_b128 v0, v[212:215]
	ds_write_b128 v0, v[176:179] offset:32
	s_waitcnt lgkmcnt(0)
	; wave barrier
	s_waitcnt lgkmcnt(0)
	ds_read_b128 v[0:3], v10
	ds_read_b128 v[4:7], v10 offset:4032
	ds_read_b128 v[12:15], v10 offset:8064
	;; [unrolled: 1-line block ×11, first 2 shown]
	s_waitcnt lgkmcnt(10)
	v_mul_f64 v[8:9], v[186:187], v[6:7]
	s_waitcnt lgkmcnt(0)
	; wave barrier
	s_waitcnt lgkmcnt(0)
	v_fma_f64 v[8:9], v[184:185], v[4:5], v[8:9]
	v_mul_f64 v[4:5], v[186:187], v[4:5]
	v_fma_f64 v[36:37], v[184:185], v[6:7], -v[4:5]
	v_mul_f64 v[4:5], v[170:171], v[14:15]
	v_fma_f64 v[38:39], v[168:169], v[12:13], v[4:5]
	v_mul_f64 v[4:5], v[170:171], v[12:13]
	v_add_f64 v[6:7], v[8:9], v[38:39]
	v_fma_f64 v[14:15], v[168:169], v[14:15], -v[4:5]
	v_mul_f64 v[4:5], v[182:183], v[22:23]
	v_fma_f64 v[6:7], v[6:7], -0.5, v[0:1]
	v_add_f64 v[12:13], v[36:37], -v[14:15]
	v_fma_f64 v[40:41], v[180:181], v[20:21], v[4:5]
	v_mul_f64 v[4:5], v[182:183], v[20:21]
	v_fma_f64 v[42:43], v[180:181], v[22:23], -v[4:5]
	v_mul_f64 v[4:5], v[174:175], v[26:27]
	v_fma_f64 v[168:169], v[172:173], v[24:25], v[4:5]
	v_mul_f64 v[4:5], v[174:175], v[24:25]
	v_fma_f64 v[26:27], v[172:173], v[26:27], -v[4:5]
	v_mul_f64 v[4:5], v[198:199], v[34:35]
	v_add_f64 v[22:23], v[42:43], -v[26:27]
	v_fma_f64 v[170:171], v[196:197], v[32:33], v[4:5]
	v_mul_f64 v[4:5], v[198:199], v[32:33]
	v_fma_f64 v[172:173], v[196:197], v[34:35], -v[4:5]
	v_mul_f64 v[4:5], v[190:191], v[166:167]
	v_fma_f64 v[174:175], v[188:189], v[164:165], v[4:5]
	v_mul_f64 v[4:5], v[190:191], v[164:165]
	v_fma_f64 v[166:167], v[188:189], v[166:167], -v[4:5]
	v_mul_f64 v[4:5], v[194:195], v[178:179]
	v_add_f64 v[34:35], v[172:173], -v[166:167]
	v_fma_f64 v[180:181], v[192:193], v[176:177], v[4:5]
	v_mul_f64 v[4:5], v[194:195], v[176:177]
	v_fma_f64 v[176:177], v[192:193], v[178:179], -v[4:5]
	v_mul_f64 v[4:5], v[202:203], v[214:215]
	v_fma_f64 v[178:179], v[200:201], v[212:213], v[4:5]
	v_mul_f64 v[4:5], v[202:203], v[212:213]
	v_fma_f64 v[182:183], v[200:201], v[214:215], -v[4:5]
	v_add_f64 v[4:5], v[0:1], v[8:9]
	v_fma_f64 v[0:1], v[12:13], s[4:5], v[6:7]
	v_fma_f64 v[12:13], v[12:13], s[6:7], v[6:7]
	v_add_f64 v[6:7], v[2:3], v[36:37]
	v_add_f64 v[8:9], v[8:9], -v[38:39]
	v_add_f64 v[4:5], v[4:5], v[38:39]
	v_add_f64 v[6:7], v[6:7], v[14:15]
	;; [unrolled: 1-line block ×3, first 2 shown]
	v_add_f64 v[36:37], v[170:171], -v[174:175]
	v_fma_f64 v[14:15], v[14:15], -0.5, v[2:3]
	v_fma_f64 v[2:3], v[8:9], s[6:7], v[14:15]
	v_fma_f64 v[14:15], v[8:9], s[4:5], v[14:15]
	v_add_f64 v[8:9], v[16:17], v[40:41]
	v_add_f64 v[20:21], v[8:9], v[168:169]
	;; [unrolled: 1-line block ×3, first 2 shown]
	v_fma_f64 v[8:9], v[8:9], -0.5, v[16:17]
	v_fma_f64 v[16:17], v[22:23], s[4:5], v[8:9]
	v_fma_f64 v[24:25], v[22:23], s[6:7], v[8:9]
	v_add_f64 v[8:9], v[18:19], v[42:43]
	v_add_f64 v[22:23], v[8:9], v[26:27]
	;; [unrolled: 1-line block ×3, first 2 shown]
	v_add_f64 v[26:27], v[40:41], -v[168:169]
	v_fma_f64 v[8:9], v[8:9], -0.5, v[18:19]
	v_fma_f64 v[18:19], v[26:27], s[6:7], v[8:9]
	v_fma_f64 v[26:27], v[26:27], s[4:5], v[8:9]
	v_add_f64 v[8:9], v[28:29], v[170:171]
	v_add_f64 v[32:33], v[8:9], v[174:175]
	v_add_f64 v[8:9], v[170:171], v[174:175]
	v_fma_f64 v[8:9], v[8:9], -0.5, v[28:29]
	v_fma_f64 v[28:29], v[34:35], s[4:5], v[8:9]
	v_fma_f64 v[164:165], v[34:35], s[6:7], v[8:9]
	v_add_f64 v[8:9], v[30:31], v[172:173]
	v_add_f64 v[34:35], v[8:9], v[166:167]
	;; [unrolled: 1-line block ×3, first 2 shown]
	v_fma_f64 v[8:9], v[8:9], -0.5, v[30:31]
	v_fma_f64 v[30:31], v[36:37], s[6:7], v[8:9]
	v_fma_f64 v[166:167], v[36:37], s[4:5], v[8:9]
	v_add_f64 v[8:9], v[160:161], v[180:181]
	v_add_f64 v[36:37], v[176:177], -v[182:183]
	v_add_f64 v[168:169], v[8:9], v[178:179]
	v_add_f64 v[8:9], v[180:181], v[178:179]
	v_fma_f64 v[8:9], v[8:9], -0.5, v[160:161]
	v_fma_f64 v[160:161], v[36:37], s[4:5], v[8:9]
	v_fma_f64 v[172:173], v[36:37], s[6:7], v[8:9]
	v_add_f64 v[8:9], v[162:163], v[176:177]
	v_add_f64 v[36:37], v[180:181], -v[178:179]
	v_add_f64 v[170:171], v[8:9], v[182:183]
	v_add_f64 v[8:9], v[176:177], v[182:183]
	v_fma_f64 v[8:9], v[8:9], -0.5, v[162:163]
	v_fma_f64 v[162:163], v[36:37], s[6:7], v[8:9]
	v_fma_f64 v[174:175], v[36:37], s[4:5], v[8:9]
	buffer_load_dword v8, off, s[36:39], 0 offset:216 ; 4-byte Folded Reload
	s_waitcnt vmcnt(0)
	ds_write_b128 v8, v[4:7]
	ds_write_b128 v8, v[0:3] offset:64
	ds_write_b128 v8, v[12:15] offset:128
	buffer_load_dword v0, off, s[36:39], 0 offset:220 ; 4-byte Folded Reload
	s_waitcnt vmcnt(0)
	ds_write_b128 v0, v[20:23]
	ds_write_b128 v0, v[16:19] offset:64
	ds_write_b128 v0, v[24:27] offset:128
	ds_write_b128 v255, v[32:35]
	ds_write_b128 v255, v[28:31] offset:64
	ds_write_b128 v255, v[164:167] offset:128
	;; [unrolled: 3-line block ×3, first 2 shown]
	s_waitcnt lgkmcnt(0)
	; wave barrier
	s_waitcnt lgkmcnt(0)
	ds_read_b128 v[0:3], v10
	ds_read_b128 v[4:7], v10 offset:4032
	ds_read_b128 v[12:15], v10 offset:8064
	;; [unrolled: 1-line block ×11, first 2 shown]
	s_waitcnt lgkmcnt(10)
	v_mul_f64 v[8:9], v[130:131], v[6:7]
	s_waitcnt lgkmcnt(0)
	; wave barrier
	s_waitcnt lgkmcnt(0)
	v_fma_f64 v[8:9], v[128:129], v[4:5], v[8:9]
	v_mul_f64 v[4:5], v[130:131], v[4:5]
	v_fma_f64 v[36:37], v[128:129], v[6:7], -v[4:5]
	v_mul_f64 v[4:5], v[142:143], v[14:15]
	v_fma_f64 v[38:39], v[140:141], v[12:13], v[4:5]
	v_mul_f64 v[4:5], v[142:143], v[12:13]
	v_add_f64 v[6:7], v[8:9], v[38:39]
	v_fma_f64 v[14:15], v[140:141], v[14:15], -v[4:5]
	v_mul_f64 v[4:5], v[134:135], v[22:23]
	v_fma_f64 v[6:7], v[6:7], -0.5, v[0:1]
	v_add_f64 v[12:13], v[36:37], -v[14:15]
	v_fma_f64 v[40:41], v[132:133], v[20:21], v[4:5]
	v_mul_f64 v[4:5], v[134:135], v[20:21]
	v_fma_f64 v[42:43], v[132:133], v[22:23], -v[4:5]
	v_mul_f64 v[4:5], v[138:139], v[26:27]
	v_fma_f64 v[128:129], v[136:137], v[24:25], v[4:5]
	v_mul_f64 v[4:5], v[138:139], v[24:25]
	v_fma_f64 v[26:27], v[136:137], v[26:27], -v[4:5]
	v_mul_f64 v[4:5], v[146:147], v[34:35]
	v_add_f64 v[22:23], v[42:43], -v[26:27]
	v_fma_f64 v[130:131], v[144:145], v[32:33], v[4:5]
	v_mul_f64 v[4:5], v[146:147], v[32:33]
	v_fma_f64 v[132:133], v[144:145], v[34:35], -v[4:5]
	v_mul_f64 v[4:5], v[154:155], v[166:167]
	v_fma_f64 v[134:135], v[152:153], v[164:165], v[4:5]
	v_mul_f64 v[4:5], v[154:155], v[164:165]
	v_fma_f64 v[136:137], v[152:153], v[166:167], -v[4:5]
	v_mul_f64 v[4:5], v[150:151], v[170:171]
	v_add_f64 v[34:35], v[132:133], -v[136:137]
	v_fma_f64 v[138:139], v[148:149], v[168:169], v[4:5]
	v_mul_f64 v[4:5], v[150:151], v[168:169]
	v_fma_f64 v[142:143], v[148:149], v[170:171], -v[4:5]
	v_mul_f64 v[4:5], v[158:159], v[174:175]
	v_fma_f64 v[144:145], v[156:157], v[172:173], v[4:5]
	v_mul_f64 v[4:5], v[158:159], v[172:173]
	v_fma_f64 v[146:147], v[156:157], v[174:175], -v[4:5]
	v_add_f64 v[4:5], v[0:1], v[8:9]
	v_fma_f64 v[0:1], v[12:13], s[4:5], v[6:7]
	v_fma_f64 v[12:13], v[12:13], s[6:7], v[6:7]
	v_add_f64 v[6:7], v[2:3], v[36:37]
	v_add_f64 v[8:9], v[8:9], -v[38:39]
	v_add_f64 v[4:5], v[4:5], v[38:39]
	v_add_f64 v[6:7], v[6:7], v[14:15]
	v_add_f64 v[14:15], v[36:37], v[14:15]
	v_add_f64 v[36:37], v[130:131], -v[134:135]
	v_fma_f64 v[14:15], v[14:15], -0.5, v[2:3]
	v_fma_f64 v[2:3], v[8:9], s[6:7], v[14:15]
	v_fma_f64 v[14:15], v[8:9], s[4:5], v[14:15]
	v_add_f64 v[8:9], v[16:17], v[40:41]
	v_add_f64 v[20:21], v[8:9], v[128:129]
	;; [unrolled: 1-line block ×3, first 2 shown]
	v_fma_f64 v[8:9], v[8:9], -0.5, v[16:17]
	v_fma_f64 v[16:17], v[22:23], s[4:5], v[8:9]
	v_fma_f64 v[24:25], v[22:23], s[6:7], v[8:9]
	v_add_f64 v[8:9], v[18:19], v[42:43]
	v_add_f64 v[22:23], v[8:9], v[26:27]
	;; [unrolled: 1-line block ×3, first 2 shown]
	v_add_f64 v[26:27], v[40:41], -v[128:129]
	v_fma_f64 v[8:9], v[8:9], -0.5, v[18:19]
	v_fma_f64 v[18:19], v[26:27], s[6:7], v[8:9]
	v_fma_f64 v[26:27], v[26:27], s[4:5], v[8:9]
	v_add_f64 v[8:9], v[28:29], v[130:131]
	v_add_f64 v[32:33], v[8:9], v[134:135]
	;; [unrolled: 1-line block ×3, first 2 shown]
	v_fma_f64 v[8:9], v[8:9], -0.5, v[28:29]
	v_fma_f64 v[28:29], v[34:35], s[4:5], v[8:9]
	v_fma_f64 v[128:129], v[34:35], s[6:7], v[8:9]
	v_add_f64 v[8:9], v[30:31], v[132:133]
	v_add_f64 v[34:35], v[8:9], v[136:137]
	;; [unrolled: 1-line block ×3, first 2 shown]
	v_fma_f64 v[8:9], v[8:9], -0.5, v[30:31]
	v_fma_f64 v[30:31], v[36:37], s[6:7], v[8:9]
	v_fma_f64 v[130:131], v[36:37], s[4:5], v[8:9]
	v_add_f64 v[8:9], v[160:161], v[138:139]
	v_add_f64 v[36:37], v[142:143], -v[146:147]
	v_add_f64 v[132:133], v[8:9], v[144:145]
	v_add_f64 v[8:9], v[138:139], v[144:145]
	v_fma_f64 v[8:9], v[8:9], -0.5, v[160:161]
	v_fma_f64 v[136:137], v[36:37], s[4:5], v[8:9]
	v_fma_f64 v[140:141], v[36:37], s[6:7], v[8:9]
	v_add_f64 v[8:9], v[162:163], v[142:143]
	v_add_f64 v[36:37], v[138:139], -v[144:145]
	v_add_f64 v[134:135], v[8:9], v[146:147]
	v_add_f64 v[8:9], v[142:143], v[146:147]
	v_fma_f64 v[8:9], v[8:9], -0.5, v[162:163]
	v_fma_f64 v[138:139], v[36:37], s[6:7], v[8:9]
	v_fma_f64 v[142:143], v[36:37], s[4:5], v[8:9]
	buffer_load_dword v8, off, s[36:39], 0 offset:200 ; 4-byte Folded Reload
	s_waitcnt vmcnt(0)
	ds_write_b128 v8, v[4:7]
	ds_write_b128 v8, v[0:3] offset:192
	ds_write_b128 v8, v[12:15] offset:384
	buffer_load_dword v0, off, s[36:39], 0 offset:204 ; 4-byte Folded Reload
	s_waitcnt vmcnt(0)
	ds_write_b128 v0, v[20:23]
	ds_write_b128 v0, v[16:19] offset:192
	ds_write_b128 v0, v[24:27] offset:384
	buffer_load_dword v0, off, s[36:39], 0 offset:208 ; 4-byte Folded Reload
	s_waitcnt vmcnt(0)
	ds_write_b128 v0, v[32:35]
	ds_write_b128 v0, v[28:31] offset:192
	ds_write_b128 v0, v[128:131] offset:384
	buffer_load_dword v0, off, s[36:39], 0 offset:212 ; 4-byte Folded Reload
	s_waitcnt vmcnt(0)
	ds_write_b128 v0, v[132:135]
	ds_write_b128 v0, v[136:139] offset:192
	ds_write_b128 v0, v[140:143] offset:384
	s_waitcnt lgkmcnt(0)
	; wave barrier
	s_waitcnt lgkmcnt(0)
	ds_read_b128 v[0:3], v10
	ds_read_b128 v[4:7], v10 offset:4032
	ds_read_b128 v[12:15], v10 offset:8064
	;; [unrolled: 1-line block ×11, first 2 shown]
	s_waitcnt lgkmcnt(10)
	v_mul_f64 v[8:9], v[98:99], v[6:7]
	s_waitcnt lgkmcnt(0)
	; wave barrier
	s_waitcnt lgkmcnt(0)
	v_fma_f64 v[8:9], v[96:97], v[4:5], v[8:9]
	v_mul_f64 v[4:5], v[98:99], v[4:5]
	v_fma_f64 v[36:37], v[96:97], v[6:7], -v[4:5]
	v_mul_f64 v[4:5], v[106:107], v[14:15]
	v_fma_f64 v[38:39], v[104:105], v[12:13], v[4:5]
	v_mul_f64 v[4:5], v[106:107], v[12:13]
	v_add_f64 v[6:7], v[8:9], v[38:39]
	v_fma_f64 v[14:15], v[104:105], v[14:15], -v[4:5]
	v_mul_f64 v[4:5], v[102:103], v[22:23]
	v_fma_f64 v[6:7], v[6:7], -0.5, v[0:1]
	v_add_f64 v[12:13], v[36:37], -v[14:15]
	v_fma_f64 v[40:41], v[100:101], v[20:21], v[4:5]
	v_mul_f64 v[4:5], v[102:103], v[20:21]
	v_fma_f64 v[42:43], v[100:101], v[22:23], -v[4:5]
	v_mul_f64 v[4:5], v[110:111], v[26:27]
	v_fma_f64 v[96:97], v[108:109], v[24:25], v[4:5]
	v_mul_f64 v[4:5], v[110:111], v[24:25]
	v_fma_f64 v[26:27], v[108:109], v[26:27], -v[4:5]
	v_mul_f64 v[4:5], v[114:115], v[34:35]
	v_add_f64 v[22:23], v[42:43], -v[26:27]
	v_fma_f64 v[98:99], v[112:113], v[32:33], v[4:5]
	v_mul_f64 v[4:5], v[114:115], v[32:33]
	v_fma_f64 v[102:103], v[112:113], v[34:35], -v[4:5]
	v_mul_f64 v[4:5], v[122:123], v[134:135]
	v_fma_f64 v[104:105], v[120:121], v[132:133], v[4:5]
	v_mul_f64 v[4:5], v[122:123], v[132:133]
	v_fma_f64 v[106:107], v[120:121], v[134:135], -v[4:5]
	v_mul_f64 v[4:5], v[118:119], v[138:139]
	;; [unrolled: 4-line block ×3, first 2 shown]
	v_fma_f64 v[116:117], v[124:125], v[140:141], v[4:5]
	v_mul_f64 v[4:5], v[126:127], v[140:141]
	v_fma_f64 v[118:119], v[124:125], v[142:143], -v[4:5]
	v_add_f64 v[4:5], v[0:1], v[8:9]
	v_fma_f64 v[0:1], v[12:13], s[4:5], v[6:7]
	v_fma_f64 v[12:13], v[12:13], s[6:7], v[6:7]
	v_add_f64 v[6:7], v[2:3], v[36:37]
	v_add_f64 v[8:9], v[8:9], -v[38:39]
	v_add_f64 v[4:5], v[4:5], v[38:39]
	v_add_f64 v[6:7], v[6:7], v[14:15]
	;; [unrolled: 1-line block ×3, first 2 shown]
	v_fma_f64 v[14:15], v[14:15], -0.5, v[2:3]
	v_fma_f64 v[2:3], v[8:9], s[6:7], v[14:15]
	v_fma_f64 v[14:15], v[8:9], s[4:5], v[14:15]
	v_add_f64 v[8:9], v[16:17], v[40:41]
	v_add_f64 v[20:21], v[8:9], v[96:97]
	;; [unrolled: 1-line block ×3, first 2 shown]
	v_fma_f64 v[8:9], v[8:9], -0.5, v[16:17]
	v_fma_f64 v[16:17], v[22:23], s[4:5], v[8:9]
	v_fma_f64 v[24:25], v[22:23], s[6:7], v[8:9]
	v_add_f64 v[8:9], v[18:19], v[42:43]
	v_add_f64 v[22:23], v[8:9], v[26:27]
	;; [unrolled: 1-line block ×3, first 2 shown]
	v_add_f64 v[26:27], v[40:41], -v[96:97]
	v_fma_f64 v[8:9], v[8:9], -0.5, v[18:19]
	v_fma_f64 v[18:19], v[26:27], s[6:7], v[8:9]
	v_fma_f64 v[26:27], v[26:27], s[4:5], v[8:9]
	v_add_f64 v[8:9], v[28:29], v[98:99]
	v_add_f64 v[32:33], v[8:9], v[104:105]
	;; [unrolled: 1-line block ×3, first 2 shown]
	v_fma_f64 v[8:9], v[8:9], -0.5, v[28:29]
	v_add_f64 v[28:29], v[102:103], -v[106:107]
	v_fma_f64 v[96:97], v[28:29], s[4:5], v[8:9]
	v_fma_f64 v[100:101], v[28:29], s[6:7], v[8:9]
	v_add_f64 v[8:9], v[30:31], v[102:103]
	v_add_f64 v[28:29], v[98:99], -v[104:105]
	v_add_f64 v[34:35], v[8:9], v[106:107]
	v_add_f64 v[8:9], v[102:103], v[106:107]
	v_fma_f64 v[8:9], v[8:9], -0.5, v[30:31]
	v_fma_f64 v[98:99], v[28:29], s[6:7], v[8:9]
	v_fma_f64 v[102:103], v[28:29], s[4:5], v[8:9]
	v_add_f64 v[8:9], v[128:129], v[110:111]
	v_add_f64 v[28:29], v[114:115], -v[118:119]
	v_add_f64 v[104:105], v[8:9], v[116:117]
	v_add_f64 v[8:9], v[110:111], v[116:117]
	v_fma_f64 v[8:9], v[8:9], -0.5, v[128:129]
	v_fma_f64 v[108:109], v[28:29], s[4:5], v[8:9]
	v_fma_f64 v[112:113], v[28:29], s[6:7], v[8:9]
	v_add_f64 v[8:9], v[130:131], v[114:115]
	v_add_f64 v[28:29], v[110:111], -v[116:117]
	v_add_f64 v[106:107], v[8:9], v[118:119]
	v_add_f64 v[8:9], v[114:115], v[118:119]
	v_fma_f64 v[8:9], v[8:9], -0.5, v[130:131]
	v_fma_f64 v[110:111], v[28:29], s[6:7], v[8:9]
	v_fma_f64 v[114:115], v[28:29], s[4:5], v[8:9]
	buffer_load_dword v8, off, s[36:39], 0 offset:184 ; 4-byte Folded Reload
	s_waitcnt vmcnt(0)
	ds_write_b128 v8, v[4:7]
	ds_write_b128 v8, v[0:3] offset:576
	ds_write_b128 v8, v[12:15] offset:1152
	buffer_load_dword v0, off, s[36:39], 0 offset:188 ; 4-byte Folded Reload
	s_waitcnt vmcnt(0)
	ds_write_b128 v0, v[20:23]
	ds_write_b128 v0, v[16:19] offset:576
	ds_write_b128 v0, v[24:27] offset:1152
	;; [unrolled: 5-line block ×4, first 2 shown]
	s_waitcnt lgkmcnt(0)
	; wave barrier
	s_waitcnt lgkmcnt(0)
	ds_read_b128 v[116:119], v10
	ds_read_b128 v[140:143], v10 offset:1728
	ds_read_b128 v[136:139], v10 offset:3456
	;; [unrolled: 1-line block ×6, first 2 shown]
	s_and_saveexec_b64 s[4:5], s[0:1]
	s_cbranch_execz .LBB0_7
; %bb.6:
	ds_read_b128 v[96:99], v10 offset:1008
	ds_read_b128 v[100:103], v10 offset:2736
	;; [unrolled: 1-line block ×7, first 2 shown]
.LBB0_7:
	s_or_b64 exec, exec, s[4:5]
	s_waitcnt lgkmcnt(5)
	v_mul_f64 v[0:1], v[74:75], v[142:143]
	v_mul_f64 v[2:3], v[74:75], v[140:141]
	s_waitcnt lgkmcnt(4)
	v_mul_f64 v[4:5], v[70:71], v[138:139]
	v_mul_f64 v[6:7], v[70:71], v[136:137]
	s_waitcnt lgkmcnt(0)
	v_mul_f64 v[8:9], v[86:87], v[134:135]
	v_mul_f64 v[12:13], v[86:87], v[132:133]
	v_mul_f64 v[18:19], v[78:79], v[130:131]
	v_mul_f64 v[20:21], v[78:79], v[128:129]
	v_fma_f64 v[0:1], v[72:73], v[140:141], v[0:1]
	v_fma_f64 v[2:3], v[72:73], v[142:143], -v[2:3]
	v_fma_f64 v[4:5], v[68:69], v[136:137], v[4:5]
	v_fma_f64 v[6:7], v[68:69], v[138:139], -v[6:7]
	v_mul_f64 v[14:15], v[66:67], v[126:127]
	v_mul_f64 v[16:17], v[66:67], v[124:125]
	;; [unrolled: 1-line block ×4, first 2 shown]
	v_fma_f64 v[8:9], v[84:85], v[132:133], v[8:9]
	v_fma_f64 v[12:13], v[84:85], v[134:135], -v[12:13]
	v_fma_f64 v[18:19], v[76:77], v[128:129], v[18:19]
	v_fma_f64 v[20:21], v[76:77], v[130:131], -v[20:21]
	;; [unrolled: 2-line block ×4, first 2 shown]
	v_add_f64 v[26:27], v[0:1], v[8:9]
	v_add_f64 v[28:29], v[2:3], v[12:13]
	v_add_f64 v[0:1], v[0:1], -v[8:9]
	v_add_f64 v[2:3], v[2:3], -v[12:13]
	v_add_f64 v[8:9], v[4:5], v[18:19]
	v_add_f64 v[12:13], v[6:7], v[20:21]
	v_add_f64 v[4:5], v[4:5], -v[18:19]
	v_add_f64 v[6:7], v[6:7], -v[20:21]
	;; [unrolled: 4-line block ×4, first 2 shown]
	v_add_f64 v[26:27], v[26:27], -v[18:19]
	v_add_f64 v[28:29], v[28:29], -v[20:21]
	;; [unrolled: 1-line block ×4, first 2 shown]
	v_add_f64 v[34:35], v[14:15], v[4:5]
	v_add_f64 v[36:37], v[16:17], v[6:7]
	v_add_f64 v[38:39], v[14:15], -v[4:5]
	v_add_f64 v[40:41], v[16:17], -v[6:7]
	v_add_f64 v[18:19], v[18:19], v[22:23]
	v_add_f64 v[20:21], v[20:21], v[24:25]
	v_add_f64 v[4:5], v[4:5], -v[0:1]
	v_add_f64 v[6:7], v[6:7], -v[2:3]
	s_mov_b32 s14, 0x37e14327
	s_mov_b32 s6, 0x36b3c0b5
	;; [unrolled: 1-line block ×7, first 2 shown]
	v_add_f64 v[14:15], v[0:1], -v[14:15]
	v_add_f64 v[16:17], v[2:3], -v[16:17]
	v_add_f64 v[22:23], v[34:35], v[0:1]
	v_add_f64 v[24:25], v[36:37], v[2:3]
	;; [unrolled: 1-line block ×4, first 2 shown]
	v_mul_f64 v[26:27], v[26:27], s[14:15]
	v_mul_f64 v[28:29], v[28:29], s[14:15]
	;; [unrolled: 1-line block ×6, first 2 shown]
	s_mov_b32 s5, 0xbfebfeb5
	v_mul_f64 v[42:43], v[4:5], s[4:5]
	v_mul_f64 v[56:57], v[6:7], s[4:5]
	s_mov_b32 s24, 0xaaaaaaaa
	s_mov_b32 s12, 0x5476071b
	;; [unrolled: 1-line block ×8, first 2 shown]
	v_fma_f64 v[18:19], v[18:19], s[24:25], v[0:1]
	v_fma_f64 v[20:21], v[20:21], s[24:25], v[2:3]
	;; [unrolled: 1-line block ×4, first 2 shown]
	v_fma_f64 v[34:35], v[30:31], s[12:13], -v[34:35]
	v_fma_f64 v[36:37], v[32:33], s[12:13], -v[36:37]
	;; [unrolled: 1-line block ×4, first 2 shown]
	v_fma_f64 v[30:31], v[14:15], s[26:27], v[38:39]
	v_fma_f64 v[32:33], v[16:17], s[26:27], v[40:41]
	s_mov_b32 s23, 0x3fd5d0dc
	s_mov_b32 s22, s26
	v_fma_f64 v[14:15], v[14:15], s[22:23], -v[42:43]
	v_fma_f64 v[16:17], v[16:17], s[22:23], -v[56:57]
	;; [unrolled: 1-line block ×4, first 2 shown]
	s_mov_b32 s20, 0x37c3f68c
	s_mov_b32 s21, 0xbfdc38aa
	v_add_f64 v[8:9], v[8:9], v[18:19]
	v_add_f64 v[38:39], v[12:13], v[20:21]
	v_fma_f64 v[32:33], v[24:25], s[20:21], v[32:33]
	v_fma_f64 v[30:31], v[22:23], s[20:21], v[30:31]
	v_add_f64 v[26:27], v[26:27], v[18:19]
	v_add_f64 v[28:29], v[28:29], v[20:21]
	v_fma_f64 v[40:41], v[24:25], s[20:21], v[16:17]
	v_fma_f64 v[42:43], v[22:23], s[20:21], v[14:15]
	;; [unrolled: 4-line block ×3, first 2 shown]
	v_add_f64 v[4:5], v[32:33], v[8:9]
	v_add_f64 v[6:7], v[38:39], -v[30:31]
	v_add_f64 v[12:13], v[40:41], v[26:27]
	v_add_f64 v[14:15], v[28:29], -v[42:43]
	v_add_f64 v[24:25], v[26:27], -v[40:41]
	v_add_f64 v[26:27], v[42:43], v[28:29]
	v_add_f64 v[16:17], v[34:35], -v[20:21]
	v_add_f64 v[18:19], v[22:23], v[36:37]
	v_add_f64 v[20:21], v[20:21], v[34:35]
	v_add_f64 v[22:23], v[36:37], -v[22:23]
	v_add_f64 v[28:29], v[8:9], -v[32:33]
	v_add_f64 v[30:31], v[30:31], v[38:39]
	ds_write_b128 v10, v[0:3]
	ds_write_b128 v10, v[4:7] offset:1728
	ds_write_b128 v10, v[12:15] offset:3456
	;; [unrolled: 1-line block ×6, first 2 shown]
	s_and_saveexec_b64 s[28:29], s[0:1]
	s_cbranch_execz .LBB0_9
; %bb.8:
	v_mul_f64 v[0:1], v[50:51], v[114:115]
	v_mul_f64 v[2:3], v[54:55], v[110:111]
	;; [unrolled: 1-line block ×10, first 2 shown]
	v_fma_f64 v[0:1], v[48:49], v[112:113], v[0:1]
	v_fma_f64 v[2:3], v[52:53], v[108:109], v[2:3]
	v_fma_f64 v[8:9], v[88:89], v[210:211], -v[8:9]
	v_fma_f64 v[12:13], v[80:81], v[102:103], -v[12:13]
	v_mul_f64 v[22:23], v[54:55], v[108:109]
	v_mul_f64 v[24:25], v[50:51], v[112:113]
	v_fma_f64 v[14:15], v[92:93], v[206:207], -v[14:15]
	v_fma_f64 v[16:17], v[60:61], v[106:107], -v[16:17]
	v_fma_f64 v[18:19], v[60:61], v[104:105], v[18:19]
	v_fma_f64 v[20:21], v[92:93], v[204:205], v[20:21]
	;; [unrolled: 1-line block ×4, first 2 shown]
	v_fma_f64 v[22:23], v[52:53], v[110:111], -v[22:23]
	v_fma_f64 v[24:25], v[48:49], v[114:115], -v[24:25]
	v_add_f64 v[26:27], v[12:13], v[8:9]
	v_add_f64 v[28:29], v[16:17], v[14:15]
	v_add_f64 v[30:31], v[0:1], -v[2:3]
	v_add_f64 v[32:33], v[18:19], -v[20:21]
	v_add_f64 v[18:19], v[18:19], v[20:21]
	v_add_f64 v[38:39], v[4:5], -v[6:7]
	v_add_f64 v[4:5], v[4:5], v[6:7]
	v_add_f64 v[34:35], v[22:23], v[24:25]
	;; [unrolled: 1-line block ×4, first 2 shown]
	v_add_f64 v[22:23], v[24:25], -v[22:23]
	v_add_f64 v[40:41], v[30:31], -v[32:33]
	;; [unrolled: 1-line block ×4, first 2 shown]
	v_add_f64 v[42:43], v[18:19], v[4:5]
	v_add_f64 v[6:7], v[26:27], -v[34:35]
	v_add_f64 v[12:13], v[4:5], -v[48:49]
	v_add_f64 v[20:21], v[34:35], v[36:37]
	v_add_f64 v[36:37], v[38:39], -v[30:31]
	v_mul_f64 v[40:41], v[40:41], s[16:17]
	v_add_f64 v[30:31], v[30:31], v[32:33]
	v_add_f64 v[16:17], v[32:33], -v[38:39]
	v_add_f64 v[54:55], v[14:15], -v[8:9]
	v_mul_f64 v[50:51], v[6:7], s[14:15]
	v_add_f64 v[6:7], v[34:35], -v[28:29]
	v_add_f64 v[2:3], v[98:99], v[20:21]
	v_add_f64 v[34:35], v[48:49], v[42:43]
	v_fma_f64 v[42:43], v[36:37], s[26:27], v[40:41]
	v_add_f64 v[30:31], v[30:31], v[38:39]
	v_add_f64 v[38:39], v[48:49], -v[18:19]
	v_add_f64 v[26:27], v[28:29], -v[26:27]
	v_mul_f64 v[12:13], v[12:13], s[14:15]
	v_fma_f64 v[52:53], v[6:7], s[6:7], v[50:51]
	v_fma_f64 v[20:21], v[20:21], s[24:25], v[2:3]
	v_add_f64 v[0:1], v[96:97], v[34:35]
	v_mul_f64 v[48:49], v[16:17], s[4:5]
	v_fma_f64 v[24:25], v[30:31], s[20:21], v[42:43]
	v_add_f64 v[42:43], v[22:23], -v[14:15]
	v_add_f64 v[14:15], v[22:23], v[14:15]
	v_add_f64 v[4:5], v[18:19], -v[4:5]
	v_mul_f64 v[18:19], v[54:55], s[4:5]
	v_add_f64 v[32:33], v[52:53], v[20:21]
	v_add_f64 v[52:53], v[8:9], -v[22:23]
	v_mul_f64 v[28:29], v[6:7], s[6:7]
	v_mul_f64 v[22:23], v[38:39], s[6:7]
	;; [unrolled: 1-line block ×3, first 2 shown]
	v_fma_f64 v[34:35], v[34:35], s[24:25], v[0:1]
	v_fma_f64 v[38:39], v[38:39], s[6:7], v[12:13]
	v_fma_f64 v[36:37], v[36:37], s[22:23], -v[48:49]
	v_fma_f64 v[48:49], v[26:27], s[18:19], -v[50:51]
	v_add_f64 v[8:9], v[14:15], v[8:9]
	v_fma_f64 v[12:13], v[4:5], s[18:19], -v[12:13]
	v_fma_f64 v[18:19], v[52:53], s[22:23], -v[18:19]
	v_fma_f64 v[50:51], v[52:53], s[26:27], v[42:43]
	v_fma_f64 v[14:15], v[26:27], s[12:13], -v[28:29]
	v_fma_f64 v[16:17], v[16:17], s[4:5], -v[40:41]
	;; [unrolled: 1-line block ×4, first 2 shown]
	v_fma_f64 v[26:27], v[30:31], s[20:21], v[36:37]
	v_add_f64 v[28:29], v[48:49], v[20:21]
	v_add_f64 v[36:37], v[38:39], v[34:35]
	v_fma_f64 v[38:39], v[8:9], s[20:21], v[50:51]
	v_add_f64 v[12:13], v[12:13], v[34:35]
	v_fma_f64 v[40:41], v[8:9], s[20:21], v[18:19]
	;; [unrolled: 2-line block ×4, first 2 shown]
	v_add_f64 v[14:15], v[26:27], v[28:29]
	v_add_f64 v[26:27], v[28:29], -v[26:27]
	v_add_f64 v[30:31], v[32:33], -v[24:25]
	v_add_f64 v[28:29], v[38:39], v[36:37]
	v_add_f64 v[6:7], v[24:25], v[32:33]
	v_add_f64 v[24:25], v[40:41], v[12:13]
	v_add_f64 v[18:19], v[20:21], -v[16:17]
	v_add_f64 v[22:23], v[16:17], v[20:21]
	v_add_f64 v[20:21], v[4:5], -v[8:9]
	v_add_f64 v[16:17], v[8:9], v[4:5]
	v_add_f64 v[12:13], v[12:13], -v[40:41]
	v_add_f64 v[4:5], v[36:37], -v[38:39]
	ds_write_b128 v10, v[0:3] offset:1008
	ds_write_b128 v10, v[28:31] offset:2736
	;; [unrolled: 1-line block ×7, first 2 shown]
.LBB0_9:
	s_or_b64 exec, exec, s[28:29]
	s_waitcnt lgkmcnt(0)
	; wave barrier
	s_waitcnt lgkmcnt(0)
	ds_read_b128 v[0:3], v10
	ds_read_b128 v[4:7], v10 offset:1008
	buffer_load_dword v21, off, s[36:39], 0 offset:168 ; 4-byte Folded Reload
	buffer_load_dword v22, off, s[36:39], 0 offset:172 ; 4-byte Folded Reload
	;; [unrolled: 1-line block ×4, first 2 shown]
	buffer_load_dword v12, off, s[36:39], 0 ; 4-byte Folded Reload
	buffer_load_dword v13, off, s[36:39], 0 offset:4 ; 4-byte Folded Reload
	v_mad_u64_u32 v[19:20], s[0:1], s8, v11, 0
	v_mov_b32_e32 v25, s3
	s_mul_hi_u32 s3, s8, 0x17a0
	s_waitcnt vmcnt(2) lgkmcnt(1)
	v_mul_f64 v[8:9], v[23:24], v[2:3]
	s_waitcnt vmcnt(1)
	v_mov_b32_e32 v17, v12
	v_mad_u64_u32 v[15:16], s[0:1], s10, v17, 0
	s_waitcnt vmcnt(0)
	v_mul_f64 v[12:13], v[23:24], v[0:1]
	v_mov_b32_e32 v14, v16
	v_fma_f64 v[0:1], v[21:22], v[0:1], v[8:9]
	v_mad_u64_u32 v[8:9], s[0:1], s11, v17, v[14:15]
	v_mov_b32_e32 v9, v20
	v_fma_f64 v[2:3], v[21:22], v[2:3], -v[12:13]
	v_mov_b32_e32 v16, v8
	v_mad_u64_u32 v[8:9], s[4:5], s9, v11, v[9:10]
	ds_read_b128 v[11:14], v10 offset:6048
	s_mov_b32 s0, 0x6b015ac0
	v_mov_b32_e32 v20, v8
	v_lshlrev_b64 v[8:9], 4, v[15:16]
	ds_read_b128 v[15:18], v10 offset:7056
	buffer_load_dword v27, off, s[36:39], 0 offset:56 ; 4-byte Folded Reload
	buffer_load_dword v28, off, s[36:39], 0 offset:60 ; 4-byte Folded Reload
	;; [unrolled: 1-line block ×4, first 2 shown]
	s_mov_b32 s1, 0x3f55ac05
	v_mul_f64 v[0:1], v[0:1], s[0:1]
	v_mul_f64 v[2:3], v[2:3], s[0:1]
	v_add_co_u32_e32 v26, vcc, s2, v8
	v_addc_co_u32_e32 v25, vcc, v25, v9, vcc
	v_lshlrev_b64 v[8:9], 4, v[19:20]
	s_mul_i32 s2, s9, 0x17a0
	v_add_co_u32_e32 v8, vcc, v26, v8
	v_addc_co_u32_e32 v9, vcc, v25, v9, vcc
	global_store_dwordx4 v[8:9], v[0:3], off
	s_add_i32 s2, s3, s2
	s_mul_i32 s3, s8, 0x17a0
	v_add_co_u32_e32 v8, vcc, s3, v8
	s_mul_hi_u32 s5, s8, 0xffffec50
	s_mul_i32 s4, s9, 0xffffec50
	s_sub_i32 s5, s5, s8
	s_add_i32 s5, s5, s4
	s_mul_i32 s4, s8, 0xffffec50
	s_waitcnt vmcnt(1) lgkmcnt(1)
	v_mul_f64 v[23:24], v[29:30], v[11:12]
	v_mul_f64 v[21:22], v[29:30], v[13:14]
	v_fma_f64 v[13:14], v[27:28], v[13:14], -v[23:24]
	buffer_load_dword v23, off, s[36:39], 0 offset:120 ; 4-byte Folded Reload
	buffer_load_dword v24, off, s[36:39], 0 offset:124 ; 4-byte Folded Reload
	;; [unrolled: 1-line block ×4, first 2 shown]
	v_fma_f64 v[11:12], v[27:28], v[11:12], v[21:22]
	v_mul_f64 v[2:3], v[13:14], s[0:1]
	s_waitcnt lgkmcnt(0)
	v_mul_f64 v[13:14], v[46:47], v[15:16]
	v_mul_f64 v[0:1], v[11:12], s[0:1]
	v_mov_b32_e32 v11, s2
	v_addc_co_u32_e32 v9, vcc, v9, v11, vcc
	v_mul_f64 v[11:12], v[46:47], v[17:18]
	v_fma_f64 v[17:18], v[44:45], v[17:18], -v[13:14]
	global_store_dwordx4 v[8:9], v[0:3], off
	v_add_co_u32_e32 v8, vcc, s4, v8
	v_fma_f64 v[15:16], v[44:45], v[15:16], v[11:12]
	ds_read_b128 v[11:14], v10 offset:3024
	s_waitcnt vmcnt(1)
	v_mul_f64 v[19:20], v[25:26], v[6:7]
	v_mul_f64 v[21:22], v[25:26], v[4:5]
	v_fma_f64 v[4:5], v[23:24], v[4:5], v[19:20]
	v_fma_f64 v[6:7], v[23:24], v[6:7], -v[21:22]
	v_mov_b32_e32 v23, s5
	v_addc_co_u32_e32 v9, vcc, v9, v23, vcc
	v_mul_f64 v[0:1], v[4:5], s[0:1]
	v_mul_f64 v[2:3], v[6:7], s[0:1]
	ds_read_b128 v[4:7], v10 offset:2016
	buffer_load_dword v24, off, s[36:39], 0 offset:136 ; 4-byte Folded Reload
	buffer_load_dword v25, off, s[36:39], 0 offset:140 ; 4-byte Folded Reload
	;; [unrolled: 1-line block ×4, first 2 shown]
	s_waitcnt vmcnt(0) lgkmcnt(0)
	v_mul_f64 v[19:20], v[26:27], v[6:7]
	v_mul_f64 v[21:22], v[26:27], v[4:5]
	global_store_dwordx4 v[8:9], v[0:3], off
	v_mov_b32_e32 v27, s2
	v_mul_f64 v[0:1], v[15:16], s[0:1]
	v_mul_f64 v[2:3], v[17:18], s[0:1]
	ds_read_b128 v[15:18], v10 offset:8064
	v_add_co_u32_e32 v8, vcc, s3, v8
	v_fma_f64 v[19:20], v[24:25], v[4:5], v[19:20]
	v_fma_f64 v[21:22], v[24:25], v[6:7], -v[21:22]
	ds_read_b128 v[4:7], v10 offset:9072
	buffer_load_dword v28, off, s[36:39], 0 offset:40 ; 4-byte Folded Reload
	buffer_load_dword v29, off, s[36:39], 0 offset:44 ; 4-byte Folded Reload
	;; [unrolled: 1-line block ×4, first 2 shown]
	v_addc_co_u32_e32 v9, vcc, v9, v27, vcc
	global_store_dwordx4 v[8:9], v[0:3], off
	v_mov_b32_e32 v27, s5
	v_mul_f64 v[0:1], v[19:20], s[0:1]
	v_mul_f64 v[2:3], v[21:22], s[0:1]
	v_add_co_u32_e32 v8, vcc, s4, v8
	v_addc_co_u32_e32 v9, vcc, v9, v27, vcc
	s_waitcnt vmcnt(1) lgkmcnt(1)
	v_mul_f64 v[23:24], v[30:31], v[17:18]
	v_mul_f64 v[25:26], v[30:31], v[15:16]
	v_fma_f64 v[15:16], v[28:29], v[15:16], v[23:24]
	v_fma_f64 v[17:18], v[28:29], v[17:18], -v[25:26]
	buffer_load_dword v28, off, s[36:39], 0 offset:88 ; 4-byte Folded Reload
	buffer_load_dword v29, off, s[36:39], 0 offset:92 ; 4-byte Folded Reload
	;; [unrolled: 1-line block ×4, first 2 shown]
	v_mov_b32_e32 v23, s2
	global_store_dwordx4 v[8:9], v[0:3], off
	v_add_co_u32_e32 v8, vcc, s3, v8
	v_addc_co_u32_e32 v9, vcc, v9, v23, vcc
	v_mul_f64 v[0:1], v[15:16], s[0:1]
	v_mul_f64 v[2:3], v[17:18], s[0:1]
	v_mov_b32_e32 v24, s5
	v_add_co_u32_e32 v23, vcc, s4, v8
	v_addc_co_u32_e32 v24, vcc, v9, v24, vcc
	s_waitcnt vmcnt(1)
	v_mul_f64 v[19:20], v[30:31], v[13:14]
	v_mul_f64 v[21:22], v[30:31], v[11:12]
	v_fma_f64 v[11:12], v[28:29], v[11:12], v[19:20]
	v_fma_f64 v[13:14], v[28:29], v[13:14], -v[21:22]
	buffer_load_dword v19, off, s[36:39], 0 offset:152 ; 4-byte Folded Reload
	buffer_load_dword v20, off, s[36:39], 0 offset:156 ; 4-byte Folded Reload
	;; [unrolled: 1-line block ×4, first 2 shown]
	s_waitcnt vmcnt(0) lgkmcnt(0)
	v_mul_f64 v[15:16], v[21:22], v[6:7]
	v_mul_f64 v[17:18], v[21:22], v[4:5]
	global_store_dwordx4 v[8:9], v[0:3], off
	v_fma_f64 v[15:16], v[19:20], v[4:5], v[15:16]
	v_mul_f64 v[0:1], v[11:12], s[0:1]
	v_mul_f64 v[2:3], v[13:14], s[0:1]
	ds_read_b128 v[11:14], v10 offset:4032
	v_fma_f64 v[17:18], v[19:20], v[6:7], -v[17:18]
	ds_read_b128 v[4:7], v10 offset:5040
	buffer_load_dword v25, off, s[36:39], 0 offset:24 ; 4-byte Folded Reload
	buffer_load_dword v26, off, s[36:39], 0 offset:28 ; 4-byte Folded Reload
	buffer_load_dword v27, off, s[36:39], 0 offset:32 ; 4-byte Folded Reload
	buffer_load_dword v28, off, s[36:39], 0 offset:36 ; 4-byte Folded Reload
	s_waitcnt vmcnt(0) lgkmcnt(1)
	v_mul_f64 v[19:20], v[27:28], v[13:14]
	global_store_dwordx4 v[23:24], v[0:3], off
	v_mul_f64 v[21:22], v[27:28], v[11:12]
	v_mul_f64 v[0:1], v[15:16], s[0:1]
	;; [unrolled: 1-line block ×3, first 2 shown]
	ds_read_b128 v[15:18], v10 offset:10080
	v_mov_b32_e32 v27, s2
	v_add_co_u32_e32 v23, vcc, s3, v23
	v_fma_f64 v[19:20], v[25:26], v[11:12], v[19:20]
	ds_read_b128 v[8:11], v10 offset:11088
	buffer_load_dword v28, off, s[36:39], 0 offset:8 ; 4-byte Folded Reload
	buffer_load_dword v29, off, s[36:39], 0 offset:12 ; 4-byte Folded Reload
	;; [unrolled: 1-line block ×4, first 2 shown]
	v_fma_f64 v[12:13], v[25:26], v[13:14], -v[21:22]
	v_addc_co_u32_e32 v24, vcc, v24, v27, vcc
	global_store_dwordx4 v[23:24], v[0:3], off
	s_waitcnt vmcnt(1) lgkmcnt(1)
	v_mul_f64 v[21:22], v[30:31], v[17:18]
	v_mul_f64 v[25:26], v[30:31], v[15:16]
	;; [unrolled: 1-line block ×4, first 2 shown]
	v_mov_b32_e32 v19, s5
	v_fma_f64 v[12:13], v[28:29], v[15:16], v[21:22]
	v_fma_f64 v[14:15], v[28:29], v[17:18], -v[25:26]
	buffer_load_dword v26, off, s[36:39], 0 offset:72 ; 4-byte Folded Reload
	buffer_load_dword v27, off, s[36:39], 0 offset:76 ; 4-byte Folded Reload
	;; [unrolled: 1-line block ×4, first 2 shown]
	v_add_co_u32_e32 v16, vcc, s4, v23
	v_addc_co_u32_e32 v17, vcc, v24, v19, vcc
	s_waitcnt vmcnt(0)
	v_mul_f64 v[18:19], v[28:29], v[6:7]
	v_mul_f64 v[20:21], v[28:29], v[4:5]
	buffer_load_dword v28, off, s[36:39], 0 offset:104 ; 4-byte Folded Reload
	buffer_load_dword v29, off, s[36:39], 0 offset:108 ; 4-byte Folded Reload
	buffer_load_dword v30, off, s[36:39], 0 offset:112 ; 4-byte Folded Reload
	buffer_load_dword v31, off, s[36:39], 0 offset:116 ; 4-byte Folded Reload
	v_fma_f64 v[4:5], v[26:27], v[4:5], v[18:19]
	global_store_dwordx4 v[16:17], v[0:3], off
	v_fma_f64 v[6:7], v[26:27], v[6:7], -v[20:21]
	v_mul_f64 v[0:1], v[12:13], s[0:1]
	v_mul_f64 v[2:3], v[14:15], s[0:1]
	v_mov_b32_e32 v13, s2
	v_add_co_u32_e32 v12, vcc, s3, v16
	v_addc_co_u32_e32 v13, vcc, v17, v13, vcc
	v_mov_b32_e32 v14, s5
	global_store_dwordx4 v[12:13], v[0:3], off
	s_nop 0
	v_mul_f64 v[0:1], v[4:5], s[0:1]
	v_mul_f64 v[2:3], v[6:7], s[0:1]
	s_waitcnt vmcnt(2) lgkmcnt(0)
	v_mul_f64 v[22:23], v[30:31], v[10:11]
	v_mul_f64 v[24:25], v[30:31], v[8:9]
	v_fma_f64 v[8:9], v[28:29], v[8:9], v[22:23]
	v_fma_f64 v[10:11], v[28:29], v[10:11], -v[24:25]
	v_mul_f64 v[4:5], v[8:9], s[0:1]
	v_mul_f64 v[6:7], v[10:11], s[0:1]
	v_add_co_u32_e32 v8, vcc, s4, v12
	v_addc_co_u32_e32 v9, vcc, v13, v14, vcc
	global_store_dwordx4 v[8:9], v[0:3], off
	s_nop 0
	v_mov_b32_e32 v1, s2
	v_add_co_u32_e32 v0, vcc, s3, v8
	v_addc_co_u32_e32 v1, vcc, v9, v1, vcc
	global_store_dwordx4 v[0:1], v[4:7], off
.LBB0_10:
	s_endpgm
	.section	.rodata,"a",@progbits
	.p2align	6, 0x0
	.amdhsa_kernel bluestein_single_fwd_len756_dim1_dp_op_CI_CI
		.amdhsa_group_segment_fixed_size 12096
		.amdhsa_private_segment_fixed_size 272
		.amdhsa_kernarg_size 104
		.amdhsa_user_sgpr_count 6
		.amdhsa_user_sgpr_private_segment_buffer 1
		.amdhsa_user_sgpr_dispatch_ptr 0
		.amdhsa_user_sgpr_queue_ptr 0
		.amdhsa_user_sgpr_kernarg_segment_ptr 1
		.amdhsa_user_sgpr_dispatch_id 0
		.amdhsa_user_sgpr_flat_scratch_init 0
		.amdhsa_user_sgpr_private_segment_size 0
		.amdhsa_uses_dynamic_stack 0
		.amdhsa_system_sgpr_private_segment_wavefront_offset 1
		.amdhsa_system_sgpr_workgroup_id_x 1
		.amdhsa_system_sgpr_workgroup_id_y 0
		.amdhsa_system_sgpr_workgroup_id_z 0
		.amdhsa_system_sgpr_workgroup_info 0
		.amdhsa_system_vgpr_workitem_id 0
		.amdhsa_next_free_vgpr 256
		.amdhsa_next_free_sgpr 40
		.amdhsa_reserve_vcc 1
		.amdhsa_reserve_flat_scratch 0
		.amdhsa_float_round_mode_32 0
		.amdhsa_float_round_mode_16_64 0
		.amdhsa_float_denorm_mode_32 3
		.amdhsa_float_denorm_mode_16_64 3
		.amdhsa_dx10_clamp 1
		.amdhsa_ieee_mode 1
		.amdhsa_fp16_overflow 0
		.amdhsa_exception_fp_ieee_invalid_op 0
		.amdhsa_exception_fp_denorm_src 0
		.amdhsa_exception_fp_ieee_div_zero 0
		.amdhsa_exception_fp_ieee_overflow 0
		.amdhsa_exception_fp_ieee_underflow 0
		.amdhsa_exception_fp_ieee_inexact 0
		.amdhsa_exception_int_div_zero 0
	.end_amdhsa_kernel
	.text
.Lfunc_end0:
	.size	bluestein_single_fwd_len756_dim1_dp_op_CI_CI, .Lfunc_end0-bluestein_single_fwd_len756_dim1_dp_op_CI_CI
                                        ; -- End function
	.section	.AMDGPU.csdata,"",@progbits
; Kernel info:
; codeLenInByte = 17300
; NumSgprs: 44
; NumVgprs: 256
; ScratchSize: 272
; MemoryBound: 0
; FloatMode: 240
; IeeeMode: 1
; LDSByteSize: 12096 bytes/workgroup (compile time only)
; SGPRBlocks: 5
; VGPRBlocks: 63
; NumSGPRsForWavesPerEU: 44
; NumVGPRsForWavesPerEU: 256
; Occupancy: 1
; WaveLimiterHint : 1
; COMPUTE_PGM_RSRC2:SCRATCH_EN: 1
; COMPUTE_PGM_RSRC2:USER_SGPR: 6
; COMPUTE_PGM_RSRC2:TRAP_HANDLER: 0
; COMPUTE_PGM_RSRC2:TGID_X_EN: 1
; COMPUTE_PGM_RSRC2:TGID_Y_EN: 0
; COMPUTE_PGM_RSRC2:TGID_Z_EN: 0
; COMPUTE_PGM_RSRC2:TIDIG_COMP_CNT: 0
	.type	__hip_cuid_870a3e7421a84c29,@object ; @__hip_cuid_870a3e7421a84c29
	.section	.bss,"aw",@nobits
	.globl	__hip_cuid_870a3e7421a84c29
__hip_cuid_870a3e7421a84c29:
	.byte	0                               ; 0x0
	.size	__hip_cuid_870a3e7421a84c29, 1

	.ident	"AMD clang version 19.0.0git (https://github.com/RadeonOpenCompute/llvm-project roc-6.4.0 25133 c7fe45cf4b819c5991fe208aaa96edf142730f1d)"
	.section	".note.GNU-stack","",@progbits
	.addrsig
	.addrsig_sym __hip_cuid_870a3e7421a84c29
	.amdgpu_metadata
---
amdhsa.kernels:
  - .args:
      - .actual_access:  read_only
        .address_space:  global
        .offset:         0
        .size:           8
        .value_kind:     global_buffer
      - .actual_access:  read_only
        .address_space:  global
        .offset:         8
        .size:           8
        .value_kind:     global_buffer
      - .actual_access:  read_only
        .address_space:  global
        .offset:         16
        .size:           8
        .value_kind:     global_buffer
      - .actual_access:  read_only
        .address_space:  global
        .offset:         24
        .size:           8
        .value_kind:     global_buffer
      - .actual_access:  read_only
        .address_space:  global
        .offset:         32
        .size:           8
        .value_kind:     global_buffer
      - .offset:         40
        .size:           8
        .value_kind:     by_value
      - .address_space:  global
        .offset:         48
        .size:           8
        .value_kind:     global_buffer
      - .address_space:  global
        .offset:         56
        .size:           8
        .value_kind:     global_buffer
      - .address_space:  global
        .offset:         64
        .size:           8
        .value_kind:     global_buffer
      - .address_space:  global
        .offset:         72
        .size:           8
        .value_kind:     global_buffer
      - .offset:         80
        .size:           4
        .value_kind:     by_value
      - .address_space:  global
        .offset:         88
        .size:           8
        .value_kind:     global_buffer
      - .address_space:  global
        .offset:         96
        .size:           8
        .value_kind:     global_buffer
    .group_segment_fixed_size: 12096
    .kernarg_segment_align: 8
    .kernarg_segment_size: 104
    .language:       OpenCL C
    .language_version:
      - 2
      - 0
    .max_flat_workgroup_size: 63
    .name:           bluestein_single_fwd_len756_dim1_dp_op_CI_CI
    .private_segment_fixed_size: 272
    .sgpr_count:     44
    .sgpr_spill_count: 0
    .symbol:         bluestein_single_fwd_len756_dim1_dp_op_CI_CI.kd
    .uniform_work_group_size: 1
    .uses_dynamic_stack: false
    .vgpr_count:     256
    .vgpr_spill_count: 67
    .wavefront_size: 64
amdhsa.target:   amdgcn-amd-amdhsa--gfx906
amdhsa.version:
  - 1
  - 2
...

	.end_amdgpu_metadata
